;; amdgpu-corpus repo=ROCm/rocFFT kind=compiled arch=gfx1201 opt=O3
	.text
	.amdgcn_target "amdgcn-amd-amdhsa--gfx1201"
	.amdhsa_code_object_version 6
	.protected	fft_rtc_back_len1701_factors_3_3_3_3_3_7_wgs_63_tpt_63_halfLds_sp_ip_CI_sbrr_dirReg ; -- Begin function fft_rtc_back_len1701_factors_3_3_3_3_3_7_wgs_63_tpt_63_halfLds_sp_ip_CI_sbrr_dirReg
	.globl	fft_rtc_back_len1701_factors_3_3_3_3_3_7_wgs_63_tpt_63_halfLds_sp_ip_CI_sbrr_dirReg
	.p2align	8
	.type	fft_rtc_back_len1701_factors_3_3_3_3_3_7_wgs_63_tpt_63_halfLds_sp_ip_CI_sbrr_dirReg,@function
fft_rtc_back_len1701_factors_3_3_3_3_3_7_wgs_63_tpt_63_halfLds_sp_ip_CI_sbrr_dirReg: ; @fft_rtc_back_len1701_factors_3_3_3_3_3_7_wgs_63_tpt_63_halfLds_sp_ip_CI_sbrr_dirReg
; %bb.0:
	s_clause 0x2
	s_load_b64 s[12:13], s[0:1], 0x18
	s_load_b128 s[4:7], s[0:1], 0x0
	s_load_b64 s[10:11], s[0:1], 0x50
	v_mul_u32_u24_e32 v1, 0x411, v0
	v_mov_b32_e32 v3, 0
	s_delay_alu instid0(VALU_DEP_2) | instskip(NEXT) | instid1(VALU_DEP_1)
	v_lshrrev_b32_e32 v1, 16, v1
	v_add_nc_u32_e32 v5, ttmp9, v1
	v_mov_b32_e32 v1, 0
	v_mov_b32_e32 v2, 0
	;; [unrolled: 1-line block ×3, first 2 shown]
	s_wait_kmcnt 0x0
	s_load_b64 s[8:9], s[12:13], 0x0
	v_cmp_lt_u64_e64 s2, s[6:7], 2
	s_delay_alu instid0(VALU_DEP_1)
	s_and_b32 vcc_lo, exec_lo, s2
	s_cbranch_vccnz .LBB0_8
; %bb.1:
	s_load_b64 s[2:3], s[0:1], 0x10
	v_mov_b32_e32 v1, 0
	v_mov_b32_e32 v2, 0
	s_add_nc_u64 s[14:15], s[12:13], 8
	s_mov_b64 s[16:17], 1
	s_wait_kmcnt 0x0
	s_add_nc_u64 s[18:19], s[2:3], 8
	s_mov_b32 s3, 0
.LBB0_2:                                ; =>This Inner Loop Header: Depth=1
	s_load_b64 s[20:21], s[18:19], 0x0
                                        ; implicit-def: $vgpr7_vgpr8
	s_mov_b32 s2, exec_lo
	s_wait_kmcnt 0x0
	v_or_b32_e32 v4, s21, v6
	s_delay_alu instid0(VALU_DEP_1)
	v_cmpx_ne_u64_e32 0, v[3:4]
	s_wait_alu 0xfffe
	s_xor_b32 s22, exec_lo, s2
	s_cbranch_execz .LBB0_4
; %bb.3:                                ;   in Loop: Header=BB0_2 Depth=1
	s_cvt_f32_u32 s2, s20
	s_cvt_f32_u32 s23, s21
	s_sub_nc_u64 s[26:27], 0, s[20:21]
	s_wait_alu 0xfffe
	s_delay_alu instid0(SALU_CYCLE_1) | instskip(SKIP_1) | instid1(SALU_CYCLE_2)
	s_fmamk_f32 s2, s23, 0x4f800000, s2
	s_wait_alu 0xfffe
	v_s_rcp_f32 s2, s2
	s_delay_alu instid0(TRANS32_DEP_1) | instskip(SKIP_1) | instid1(SALU_CYCLE_2)
	s_mul_f32 s2, s2, 0x5f7ffffc
	s_wait_alu 0xfffe
	s_mul_f32 s23, s2, 0x2f800000
	s_wait_alu 0xfffe
	s_delay_alu instid0(SALU_CYCLE_2) | instskip(SKIP_1) | instid1(SALU_CYCLE_2)
	s_trunc_f32 s23, s23
	s_wait_alu 0xfffe
	s_fmamk_f32 s2, s23, 0xcf800000, s2
	s_cvt_u32_f32 s25, s23
	s_wait_alu 0xfffe
	s_delay_alu instid0(SALU_CYCLE_1) | instskip(SKIP_1) | instid1(SALU_CYCLE_2)
	s_cvt_u32_f32 s24, s2
	s_wait_alu 0xfffe
	s_mul_u64 s[28:29], s[26:27], s[24:25]
	s_wait_alu 0xfffe
	s_mul_hi_u32 s31, s24, s29
	s_mul_i32 s30, s24, s29
	s_mul_hi_u32 s2, s24, s28
	s_mul_i32 s33, s25, s28
	s_wait_alu 0xfffe
	s_add_nc_u64 s[30:31], s[2:3], s[30:31]
	s_mul_hi_u32 s23, s25, s28
	s_mul_hi_u32 s34, s25, s29
	s_add_co_u32 s2, s30, s33
	s_wait_alu 0xfffe
	s_add_co_ci_u32 s2, s31, s23
	s_mul_i32 s28, s25, s29
	s_add_co_ci_u32 s29, s34, 0
	s_wait_alu 0xfffe
	s_add_nc_u64 s[28:29], s[2:3], s[28:29]
	s_wait_alu 0xfffe
	v_add_co_u32 v4, s2, s24, s28
	s_delay_alu instid0(VALU_DEP_1) | instskip(SKIP_1) | instid1(VALU_DEP_1)
	s_cmp_lg_u32 s2, 0
	s_add_co_ci_u32 s25, s25, s29
	v_readfirstlane_b32 s24, v4
	s_wait_alu 0xfffe
	s_delay_alu instid0(VALU_DEP_1)
	s_mul_u64 s[26:27], s[26:27], s[24:25]
	s_wait_alu 0xfffe
	s_mul_hi_u32 s29, s24, s27
	s_mul_i32 s28, s24, s27
	s_mul_hi_u32 s2, s24, s26
	s_mul_i32 s30, s25, s26
	s_wait_alu 0xfffe
	s_add_nc_u64 s[28:29], s[2:3], s[28:29]
	s_mul_hi_u32 s23, s25, s26
	s_mul_hi_u32 s24, s25, s27
	s_wait_alu 0xfffe
	s_add_co_u32 s2, s28, s30
	s_add_co_ci_u32 s2, s29, s23
	s_mul_i32 s26, s25, s27
	s_add_co_ci_u32 s27, s24, 0
	s_wait_alu 0xfffe
	s_add_nc_u64 s[26:27], s[2:3], s[26:27]
	s_wait_alu 0xfffe
	v_add_co_u32 v4, s2, v4, s26
	s_delay_alu instid0(VALU_DEP_1) | instskip(SKIP_1) | instid1(VALU_DEP_1)
	s_cmp_lg_u32 s2, 0
	s_add_co_ci_u32 s2, s25, s27
	v_mul_hi_u32 v13, v5, v4
	s_wait_alu 0xfffe
	v_mad_co_u64_u32 v[7:8], null, v5, s2, 0
	v_mad_co_u64_u32 v[9:10], null, v6, v4, 0
	;; [unrolled: 1-line block ×3, first 2 shown]
	s_delay_alu instid0(VALU_DEP_3) | instskip(SKIP_1) | instid1(VALU_DEP_4)
	v_add_co_u32 v4, vcc_lo, v13, v7
	s_wait_alu 0xfffd
	v_add_co_ci_u32_e32 v7, vcc_lo, 0, v8, vcc_lo
	s_delay_alu instid0(VALU_DEP_2) | instskip(SKIP_1) | instid1(VALU_DEP_2)
	v_add_co_u32 v4, vcc_lo, v4, v9
	s_wait_alu 0xfffd
	v_add_co_ci_u32_e32 v4, vcc_lo, v7, v10, vcc_lo
	s_wait_alu 0xfffd
	v_add_co_ci_u32_e32 v7, vcc_lo, 0, v12, vcc_lo
	s_delay_alu instid0(VALU_DEP_2) | instskip(SKIP_1) | instid1(VALU_DEP_2)
	v_add_co_u32 v4, vcc_lo, v4, v11
	s_wait_alu 0xfffd
	v_add_co_ci_u32_e32 v9, vcc_lo, 0, v7, vcc_lo
	s_delay_alu instid0(VALU_DEP_2) | instskip(SKIP_1) | instid1(VALU_DEP_3)
	v_mul_lo_u32 v10, s21, v4
	v_mad_co_u64_u32 v[7:8], null, s20, v4, 0
	v_mul_lo_u32 v11, s20, v9
	s_delay_alu instid0(VALU_DEP_2) | instskip(NEXT) | instid1(VALU_DEP_2)
	v_sub_co_u32 v7, vcc_lo, v5, v7
	v_add3_u32 v8, v8, v11, v10
	s_delay_alu instid0(VALU_DEP_1) | instskip(SKIP_1) | instid1(VALU_DEP_1)
	v_sub_nc_u32_e32 v10, v6, v8
	s_wait_alu 0xfffd
	v_subrev_co_ci_u32_e64 v10, s2, s21, v10, vcc_lo
	v_add_co_u32 v11, s2, v4, 2
	s_wait_alu 0xf1ff
	v_add_co_ci_u32_e64 v12, s2, 0, v9, s2
	v_sub_co_u32 v13, s2, v7, s20
	v_sub_co_ci_u32_e32 v8, vcc_lo, v6, v8, vcc_lo
	s_wait_alu 0xf1ff
	v_subrev_co_ci_u32_e64 v10, s2, 0, v10, s2
	s_delay_alu instid0(VALU_DEP_3) | instskip(NEXT) | instid1(VALU_DEP_3)
	v_cmp_le_u32_e32 vcc_lo, s20, v13
	v_cmp_eq_u32_e64 s2, s21, v8
	s_wait_alu 0xfffd
	v_cndmask_b32_e64 v13, 0, -1, vcc_lo
	v_cmp_le_u32_e32 vcc_lo, s21, v10
	s_wait_alu 0xfffd
	v_cndmask_b32_e64 v14, 0, -1, vcc_lo
	v_cmp_le_u32_e32 vcc_lo, s20, v7
	;; [unrolled: 3-line block ×3, first 2 shown]
	s_wait_alu 0xfffd
	v_cndmask_b32_e64 v15, 0, -1, vcc_lo
	v_cmp_eq_u32_e32 vcc_lo, s21, v10
	s_wait_alu 0xf1ff
	s_delay_alu instid0(VALU_DEP_2)
	v_cndmask_b32_e64 v7, v15, v7, s2
	s_wait_alu 0xfffd
	v_cndmask_b32_e32 v10, v14, v13, vcc_lo
	v_add_co_u32 v13, vcc_lo, v4, 1
	s_wait_alu 0xfffd
	v_add_co_ci_u32_e32 v14, vcc_lo, 0, v9, vcc_lo
	s_delay_alu instid0(VALU_DEP_3) | instskip(SKIP_2) | instid1(VALU_DEP_3)
	v_cmp_ne_u32_e32 vcc_lo, 0, v10
	s_wait_alu 0xfffd
	v_cndmask_b32_e32 v10, v13, v11, vcc_lo
	v_cndmask_b32_e32 v8, v14, v12, vcc_lo
	v_cmp_ne_u32_e32 vcc_lo, 0, v7
	s_wait_alu 0xfffd
	s_delay_alu instid0(VALU_DEP_2)
	v_dual_cndmask_b32 v7, v4, v10 :: v_dual_cndmask_b32 v8, v9, v8
.LBB0_4:                                ;   in Loop: Header=BB0_2 Depth=1
	s_wait_alu 0xfffe
	s_and_not1_saveexec_b32 s2, s22
	s_cbranch_execz .LBB0_6
; %bb.5:                                ;   in Loop: Header=BB0_2 Depth=1
	v_cvt_f32_u32_e32 v4, s20
	s_sub_co_i32 s22, 0, s20
	s_delay_alu instid0(VALU_DEP_1) | instskip(NEXT) | instid1(TRANS32_DEP_1)
	v_rcp_iflag_f32_e32 v4, v4
	v_mul_f32_e32 v4, 0x4f7ffffe, v4
	s_delay_alu instid0(VALU_DEP_1) | instskip(SKIP_1) | instid1(VALU_DEP_1)
	v_cvt_u32_f32_e32 v4, v4
	s_wait_alu 0xfffe
	v_mul_lo_u32 v7, s22, v4
	s_delay_alu instid0(VALU_DEP_1) | instskip(NEXT) | instid1(VALU_DEP_1)
	v_mul_hi_u32 v7, v4, v7
	v_add_nc_u32_e32 v4, v4, v7
	s_delay_alu instid0(VALU_DEP_1) | instskip(NEXT) | instid1(VALU_DEP_1)
	v_mul_hi_u32 v4, v5, v4
	v_mul_lo_u32 v7, v4, s20
	v_add_nc_u32_e32 v8, 1, v4
	s_delay_alu instid0(VALU_DEP_2) | instskip(NEXT) | instid1(VALU_DEP_1)
	v_sub_nc_u32_e32 v7, v5, v7
	v_subrev_nc_u32_e32 v9, s20, v7
	v_cmp_le_u32_e32 vcc_lo, s20, v7
	s_wait_alu 0xfffd
	s_delay_alu instid0(VALU_DEP_2) | instskip(NEXT) | instid1(VALU_DEP_1)
	v_dual_cndmask_b32 v7, v7, v9 :: v_dual_cndmask_b32 v4, v4, v8
	v_cmp_le_u32_e32 vcc_lo, s20, v7
	s_delay_alu instid0(VALU_DEP_2) | instskip(SKIP_1) | instid1(VALU_DEP_1)
	v_add_nc_u32_e32 v8, 1, v4
	s_wait_alu 0xfffd
	v_dual_cndmask_b32 v7, v4, v8 :: v_dual_mov_b32 v8, v3
.LBB0_6:                                ;   in Loop: Header=BB0_2 Depth=1
	s_wait_alu 0xfffe
	s_or_b32 exec_lo, exec_lo, s2
	s_load_b64 s[22:23], s[14:15], 0x0
	s_delay_alu instid0(VALU_DEP_1)
	v_mul_lo_u32 v4, v8, s20
	v_mul_lo_u32 v11, v7, s21
	v_mad_co_u64_u32 v[9:10], null, v7, s20, 0
	s_add_nc_u64 s[16:17], s[16:17], 1
	s_add_nc_u64 s[14:15], s[14:15], 8
	s_wait_alu 0xfffe
	v_cmp_ge_u64_e64 s2, s[16:17], s[6:7]
	s_add_nc_u64 s[18:19], s[18:19], 8
	s_delay_alu instid0(VALU_DEP_2) | instskip(NEXT) | instid1(VALU_DEP_3)
	v_add3_u32 v4, v10, v11, v4
	v_sub_co_u32 v5, vcc_lo, v5, v9
	s_wait_alu 0xfffd
	s_delay_alu instid0(VALU_DEP_2) | instskip(SKIP_3) | instid1(VALU_DEP_2)
	v_sub_co_ci_u32_e32 v4, vcc_lo, v6, v4, vcc_lo
	s_and_b32 vcc_lo, exec_lo, s2
	s_wait_kmcnt 0x0
	v_mul_lo_u32 v6, s23, v5
	v_mul_lo_u32 v4, s22, v4
	v_mad_co_u64_u32 v[1:2], null, s22, v5, v[1:2]
	s_delay_alu instid0(VALU_DEP_1)
	v_add3_u32 v2, v6, v2, v4
	s_wait_alu 0xfffe
	s_cbranch_vccnz .LBB0_9
; %bb.7:                                ;   in Loop: Header=BB0_2 Depth=1
	v_dual_mov_b32 v5, v7 :: v_dual_mov_b32 v6, v8
	s_branch .LBB0_2
.LBB0_8:
	v_dual_mov_b32 v8, v6 :: v_dual_mov_b32 v7, v5
.LBB0_9:
	s_lshl_b64 s[2:3], s[6:7], 3
	v_mul_hi_u32 v3, 0x4104105, v0
	s_wait_alu 0xfffe
	s_add_nc_u64 s[2:3], s[12:13], s[2:3]
	s_load_b64 s[0:1], s[0:1], 0x20
	s_load_b64 s[2:3], s[2:3], 0x0
                                        ; implicit-def: $vgpr74
                                        ; implicit-def: $vgpr75
                                        ; implicit-def: $vgpr72
	s_delay_alu instid0(VALU_DEP_1) | instskip(NEXT) | instid1(VALU_DEP_1)
	v_mul_u32_u24_e32 v3, 63, v3
	v_sub_nc_u32_e32 v70, v0, v3
	s_delay_alu instid0(VALU_DEP_1)
	v_add_nc_u32_e32 v73, 63, v70
	v_add_nc_u32_e32 v71, 0x7e, v70
	;; [unrolled: 1-line block ×4, first 2 shown]
	s_wait_kmcnt 0x0
	v_cmp_gt_u64_e32 vcc_lo, s[0:1], v[7:8]
	v_mul_lo_u32 v3, s2, v8
	v_mul_lo_u32 v4, s3, v7
	v_mad_co_u64_u32 v[0:1], null, s2, v7, v[1:2]
	v_cmp_le_u64_e64 s0, s[0:1], v[7:8]
	v_add_nc_u32_e32 v78, 0x17a, v70
	v_add_nc_u32_e32 v77, 0x1b9, v70
	v_add_nc_u32_e32 v76, 0x1f8, v70
	v_add3_u32 v1, v4, v1, v3
	s_and_saveexec_b32 s1, s0
	s_wait_alu 0xfffe
	s_xor_b32 s0, exec_lo, s1
; %bb.10:
	v_add_nc_u32_e32 v74, 63, v70
	v_add_nc_u32_e32 v75, 0x7e, v70
	;; [unrolled: 1-line block ×8, first 2 shown]
; %bb.11:
	s_wait_alu 0xfffe
	s_or_saveexec_b32 s1, s0
	v_lshlrev_b64_e32 v[0:1], 3, v[0:1]
                                        ; implicit-def: $vgpr7
                                        ; implicit-def: $vgpr45
                                        ; implicit-def: $vgpr21
                                        ; implicit-def: $vgpr13
                                        ; implicit-def: $vgpr11
                                        ; implicit-def: $vgpr23
                                        ; implicit-def: $vgpr9
                                        ; implicit-def: $vgpr25
                                        ; implicit-def: $vgpr31
                                        ; implicit-def: $vgpr17
                                        ; implicit-def: $vgpr39
                                        ; implicit-def: $vgpr29
                                        ; implicit-def: $vgpr37
                                        ; implicit-def: $vgpr65
                                        ; implicit-def: $vgpr67
                                        ; implicit-def: $vgpr61
                                        ; implicit-def: $vgpr63
                                        ; implicit-def: $vgpr33
                                        ; implicit-def: $vgpr69
                                        ; implicit-def: $vgpr41
                                        ; implicit-def: $vgpr43
                                        ; implicit-def: $vgpr35
                                        ; implicit-def: $vgpr19
                                        ; implicit-def: $vgpr27
                                        ; implicit-def: $vgpr5
                                        ; implicit-def: $vgpr15
                                        ; implicit-def: $vgpr3
	s_wait_alu 0xfffe
	s_xor_b32 exec_lo, exec_lo, s1
	s_cbranch_execz .LBB0_13
; %bb.12:
	v_add_nc_u32_e32 v11, 0x237, v70
	v_mad_co_u64_u32 v[2:3], null, s8, v70, 0
	v_add_nc_u32_e32 v13, 0x46e, v70
	v_add_nc_u32_e32 v15, 0x276, v70
	s_delay_alu instid0(VALU_DEP_4) | instskip(SKIP_1) | instid1(VALU_DEP_4)
	v_mad_co_u64_u32 v[4:5], null, s8, v11, 0
	v_add_co_u32 v60, s0, s10, v0
	v_mad_co_u64_u32 v[6:7], null, s8, v13, 0
	v_add_nc_u32_e32 v19, 0x4ad, v70
	s_wait_alu 0xf1ff
	v_add_co_ci_u32_e64 v61, s0, s11, v1, s0
	v_mad_co_u64_u32 v[8:9], null, s9, v70, v[3:4]
	v_mad_co_u64_u32 v[9:10], null, s8, v73, 0
	;; [unrolled: 1-line block ×3, first 2 shown]
	v_add_nc_u32_e32 v35, 0x56a, v70
	v_add_nc_u32_e32 v43, 0x3b1, v70
	v_mov_b32_e32 v3, v8
	v_mad_co_u64_u32 v[7:8], null, s9, v13, v[7:8]
	v_mov_b32_e32 v5, v10
	v_mad_co_u64_u32 v[32:33], null, s8, v35, 0
	s_delay_alu instid0(VALU_DEP_4) | instskip(SKIP_1) | instid1(VALU_DEP_4)
	v_lshlrev_b64_e32 v[2:3], 3, v[2:3]
	v_add_nc_u32_e32 v24, 0x4ec, v70
	v_mad_co_u64_u32 v[12:13], null, s9, v73, v[5:6]
	v_mad_co_u64_u32 v[13:14], null, s8, v15, 0
	v_mov_b32_e32 v5, v11
	v_add_co_u32 v2, s0, v60, v2
	v_lshlrev_b64_e32 v[6:7], 3, v[6:7]
	v_mov_b32_e32 v10, v12
	s_delay_alu instid0(VALU_DEP_4) | instskip(SKIP_2) | instid1(VALU_DEP_4)
	v_lshlrev_b64_e32 v[4:5], 3, v[4:5]
	v_mov_b32_e32 v8, v14
	v_mad_co_u64_u32 v[11:12], null, s8, v19, 0
	v_lshlrev_b64_e32 v[9:10], 3, v[9:10]
	s_wait_alu 0xf1ff
	v_add_co_ci_u32_e64 v3, s0, v61, v3, s0
	v_add_co_u32 v4, s0, v60, v4
	s_wait_alu 0xf1ff
	v_add_co_ci_u32_e64 v5, s0, v61, v5, s0
	v_mad_co_u64_u32 v[14:15], null, s9, v15, v[8:9]
	v_mad_co_u64_u32 v[15:16], null, s8, v71, 0
	v_add_co_u32 v17, s0, v60, v6
	s_wait_alu 0xf1ff
	v_add_co_ci_u32_e64 v18, s0, v61, v7, s0
	v_mov_b32_e32 v6, v12
	s_delay_alu instid0(VALU_DEP_4) | instskip(SKIP_3) | instid1(VALU_DEP_3)
	v_dual_mov_b32 v7, v16 :: v_dual_add_nc_u32 v72, 0xbd, v70
	v_add_co_u32 v8, s0, v60, v9
	s_wait_alu 0xf1ff
	v_add_co_ci_u32_e64 v9, s0, v61, v10, s0
	v_mad_co_u64_u32 v[19:20], null, s9, v19, v[6:7]
	s_delay_alu instid0(VALU_DEP_3)
	v_mad_co_u64_u32 v[22:23], null, s9, v71, v[7:8]
	s_clause 0x3
	global_load_b64 v[6:7], v[2:3], off
	global_load_b64 v[44:45], v[4:5], off
	global_load_b64 v[20:21], v[17:18], off
	global_load_b64 v[2:3], v[8:9], off
	v_lshlrev_b64_e32 v[4:5], 3, v[13:14]
	v_mad_co_u64_u32 v[46:47], null, s8, v43, 0
	v_mov_b32_e32 v12, v19
	v_mad_co_u64_u32 v[18:19], null, s8, v72, 0
	v_dual_mov_b32 v16, v22 :: v_dual_add_nc_u32 v23, 0x2b5, v70
	s_delay_alu instid0(VALU_DEP_3) | instskip(SKIP_1) | instid1(VALU_DEP_3)
	v_lshlrev_b64_e32 v[10:11], 3, v[11:12]
	v_add_co_u32 v4, s0, v60, v4
	v_mad_co_u64_u32 v[8:9], null, s8, v23, 0
	s_delay_alu instid0(VALU_DEP_4)
	v_lshlrev_b64_e32 v[12:13], 3, v[15:16]
	v_mad_co_u64_u32 v[16:17], null, s8, v24, 0
	s_wait_alu 0xf1ff
	v_add_co_ci_u32_e64 v5, s0, v61, v5, s0
	v_add_nc_u32_e32 v59, 0x42f, v70
	v_mad_co_u64_u32 v[14:15], null, s9, v23, v[9:10]
	v_add_co_u32 v10, s0, v60, v10
	s_wait_alu 0xf1ff
	v_add_co_ci_u32_e64 v11, s0, v61, v11, s0
	v_add_co_u32 v22, s0, v60, v12
	s_delay_alu instid0(VALU_DEP_4)
	v_dual_mov_b32 v12, v19 :: v_dual_mov_b32 v9, v14
	v_add_nc_u32_e32 v28, 0x2f4, v70
	v_mov_b32_e32 v14, v17
	s_wait_alu 0xf1ff
	v_add_co_ci_u32_e64 v23, s0, v61, v13, s0
	v_lshlrev_b64_e32 v[8:9], 3, v[8:9]
	v_mov_b32_e32 v75, v71
	v_mad_co_u64_u32 v[13:14], null, s9, v24, v[14:15]
	v_mad_co_u64_u32 v[24:25], null, s8, v28, 0
	s_delay_alu instid0(VALU_DEP_4) | instskip(SKIP_2) | instid1(VALU_DEP_4)
	v_add_co_u32 v8, s0, v60, v8
	s_wait_alu 0xf1ff
	v_add_co_ci_u32_e64 v9, s0, v61, v9, s0
	v_mad_co_u64_u32 v[14:15], null, s9, v72, v[12:13]
	v_mov_b32_e32 v17, v13
	v_add_nc_u32_e32 v29, 0x52b, v70
	v_add_nc_u32_e32 v34, 0x333, v70
	;; [unrolled: 1-line block ×4, first 2 shown]
	v_lshlrev_b64_e32 v[16:17], 3, v[16:17]
	v_mov_b32_e32 v19, v14
	s_clause 0x3
	global_load_b64 v[12:13], v[4:5], off
	global_load_b64 v[14:15], v[10:11], off
	;; [unrolled: 1-line block ×4, first 2 shown]
	v_mov_b32_e32 v8, v25
	v_mad_co_u64_u32 v[26:27], null, s8, v29, 0
	v_lshlrev_b64_e32 v[18:19], 3, v[18:19]
	v_add_co_u32 v16, s0, v60, v16
	s_wait_alu 0xf1ff
	v_add_co_ci_u32_e64 v17, s0, v61, v17, s0
	v_mad_co_u64_u32 v[30:31], null, s8, v34, 0
	v_mov_b32_e32 v9, v27
	v_mad_co_u64_u32 v[48:49], null, s8, v50, 0
	v_add_nc_u32_e32 v56, 0x3f0, v70
	v_add_nc_u32_e32 v62, 0x666, v70
	s_delay_alu instid0(VALU_DEP_4) | instskip(SKIP_1) | instid1(VALU_DEP_4)
	v_mad_co_u64_u32 v[22:23], null, s9, v28, v[8:9]
	v_mov_b32_e32 v74, v73
	v_mad_co_u64_u32 v[52:53], null, s8, v56, 0
	s_delay_alu instid0(VALU_DEP_3) | instskip(NEXT) | instid1(VALU_DEP_1)
	v_mov_b32_e32 v25, v22
	v_lshlrev_b64_e32 v[22:23], 3, v[24:25]
	s_wait_loadcnt 0x0
	v_mad_co_u64_u32 v[8:9], null, s9, v29, v[9:10]
	v_mad_co_u64_u32 v[28:29], null, s8, v80, 0
	s_delay_alu instid0(VALU_DEP_2) | instskip(SKIP_1) | instid1(VALU_DEP_3)
	v_mov_b32_e32 v27, v8
	v_add_co_u32 v8, s0, v60, v18
	v_mov_b32_e32 v18, v29
	s_wait_alu 0xf1ff
	v_add_co_ci_u32_e64 v9, s0, v61, v19, s0
	v_lshlrev_b64_e32 v[24:25], 3, v[26:27]
	v_add_co_u32 v26, s0, v60, v22
	v_mad_co_u64_u32 v[18:19], null, s9, v80, v[18:19]
	v_mov_b32_e32 v19, v31
	s_wait_alu 0xf1ff
	v_add_co_ci_u32_e64 v27, s0, v61, v23, s0
	v_add_co_u32 v24, s0, v60, v24
	s_wait_alu 0xf1ff
	v_add_co_ci_u32_e64 v25, s0, v61, v25, s0
	v_mov_b32_e32 v29, v18
	v_mad_co_u64_u32 v[18:19], null, s9, v34, v[19:20]
	s_clause 0x3
	global_load_b64 v[22:23], v[16:17], off
	global_load_b64 v[8:9], v[8:9], off
	;; [unrolled: 1-line block ×4, first 2 shown]
	v_mov_b32_e32 v19, v33
	v_lshlrev_b64_e32 v[16:17], 3, v[28:29]
	v_mad_co_u64_u32 v[28:29], null, s8, v79, 0
	v_mov_b32_e32 v31, v18
	s_delay_alu instid0(VALU_DEP_4) | instskip(NEXT) | instid1(VALU_DEP_4)
	v_mad_co_u64_u32 v[18:19], null, s9, v35, v[19:20]
	v_add_co_u32 v16, s0, v60, v16
	s_delay_alu instid0(VALU_DEP_4) | instskip(NEXT) | instid1(VALU_DEP_4)
	v_mov_b32_e32 v19, v29
	v_lshlrev_b64_e32 v[29:30], 3, v[30:31]
	v_add_nc_u32_e32 v31, 0x372, v70
	s_wait_alu 0xf1ff
	v_add_co_ci_u32_e64 v17, s0, v61, v17, s0
	v_mov_b32_e32 v33, v18
	v_mad_co_u64_u32 v[18:19], null, s9, v79, v[19:20]
	v_mad_co_u64_u32 v[36:37], null, s8, v31, 0
	v_add_co_u32 v34, s0, v60, v29
	s_wait_alu 0xf1ff
	v_add_co_ci_u32_e64 v35, s0, v61, v30, s0
	s_delay_alu instid0(VALU_DEP_4) | instskip(SKIP_3) | instid1(VALU_DEP_4)
	v_mov_b32_e32 v29, v18
	v_lshlrev_b64_e32 v[18:19], 3, v[32:33]
	v_mad_co_u64_u32 v[32:33], null, s8, v40, 0
	v_mov_b32_e32 v30, v37
	v_lshlrev_b64_e32 v[28:29], 3, v[28:29]
	s_delay_alu instid0(VALU_DEP_4) | instskip(NEXT) | instid1(VALU_DEP_3)
	v_add_co_u32 v38, s0, v60, v18
	v_mad_co_u64_u32 v[30:31], null, s9, v31, v[30:31]
	v_mov_b32_e32 v18, v33
	s_wait_alu 0xf1ff
	v_add_co_ci_u32_e64 v39, s0, v61, v19, s0
	v_add_co_u32 v28, s0, v60, v28
	s_delay_alu instid0(VALU_DEP_3)
	v_mad_co_u64_u32 v[40:41], null, s9, v40, v[18:19]
	v_mad_co_u64_u32 v[41:42], null, s8, v78, 0
	v_mov_b32_e32 v37, v30
	s_wait_alu 0xf1ff
	v_add_co_ci_u32_e64 v29, s0, v61, v29, s0
	s_clause 0x3
	global_load_b64 v[18:19], v[16:17], off
	global_load_b64 v[34:35], v[34:35], off
	;; [unrolled: 1-line block ×4, first 2 shown]
	v_mov_b32_e32 v33, v40
	v_lshlrev_b64_e32 v[28:29], 3, v[36:37]
	v_dual_mov_b32 v36, v42 :: v_dual_mov_b32 v37, v47
	s_delay_alu instid0(VALU_DEP_3) | instskip(NEXT) | instid1(VALU_DEP_3)
	v_lshlrev_b64_e32 v[32:33], 3, v[32:33]
	v_add_co_u32 v28, s0, v60, v28
	s_delay_alu instid0(VALU_DEP_3) | instskip(SKIP_2) | instid1(VALU_DEP_4)
	v_mad_co_u64_u32 v[38:39], null, s9, v78, v[36:37]
	s_wait_alu 0xf1ff
	v_add_co_ci_u32_e64 v29, s0, v61, v29, s0
	v_add_co_u32 v32, s0, v60, v32
	s_wait_alu 0xf1ff
	v_add_co_ci_u32_e64 v33, s0, v61, v33, s0
	s_delay_alu instid0(VALU_DEP_4) | instskip(SKIP_1) | instid1(VALU_DEP_1)
	v_mad_co_u64_u32 v[36:37], null, s9, v43, v[37:38]
	v_mov_b32_e32 v42, v38
	v_lshlrev_b64_e32 v[37:38], 3, v[41:42]
	s_delay_alu instid0(VALU_DEP_3) | instskip(NEXT) | instid1(VALU_DEP_1)
	v_dual_mov_b32 v47, v36 :: v_dual_mov_b32 v36, v49
	v_lshlrev_b64_e32 v[39:40], 3, v[46:47]
	v_mad_co_u64_u32 v[46:47], null, s8, v77, 0
	s_delay_alu instid0(VALU_DEP_3) | instskip(SKIP_3) | instid1(VALU_DEP_4)
	v_mad_co_u64_u32 v[41:42], null, s9, v50, v[36:37]
	v_add_co_u32 v36, s0, v60, v37
	s_wait_alu 0xf1ff
	v_add_co_ci_u32_e64 v37, s0, v61, v38, s0
	v_mov_b32_e32 v38, v47
	v_add_co_u32 v50, s0, v60, v39
	s_wait_alu 0xf1ff
	v_add_co_ci_u32_e64 v51, s0, v61, v40, s0
	v_mov_b32_e32 v49, v41
	v_mad_co_u64_u32 v[54:55], null, s9, v77, v[38:39]
	s_clause 0x3
	global_load_b64 v[38:39], v[28:29], off
	global_load_b64 v[42:43], v[32:33], off
	;; [unrolled: 1-line block ×4, first 2 shown]
	v_add_nc_u32_e32 v55, 0x627, v70
	v_lshlrev_b64_e32 v[32:33], 3, v[48:49]
	v_mov_b32_e32 v36, v53
	v_mad_co_u64_u32 v[50:51], null, s8, v76, 0
	s_delay_alu instid0(VALU_DEP_4) | instskip(NEXT) | instid1(VALU_DEP_3)
	v_mad_co_u64_u32 v[48:49], null, s8, v55, 0
	v_mad_co_u64_u32 v[36:37], null, s9, v56, v[36:37]
	v_mov_b32_e32 v47, v54
	v_add_co_u32 v32, s0, v60, v32
	s_wait_alu 0xf1ff
	v_add_co_ci_u32_e64 v33, s0, v61, v33, s0
	v_mov_b32_e32 v37, v49
	v_mov_b32_e32 v53, v36
	v_lshlrev_b64_e32 v[46:47], 3, v[46:47]
	s_delay_alu instid0(VALU_DEP_2) | instskip(NEXT) | instid1(VALU_DEP_2)
	v_lshlrev_b64_e32 v[52:53], 3, v[52:53]
	v_add_co_u32 v46, s0, v60, v46
	s_wait_alu 0xf1ff
	s_delay_alu instid0(VALU_DEP_3) | instskip(NEXT) | instid1(VALU_DEP_3)
	v_add_co_ci_u32_e64 v47, s0, v61, v47, s0
	v_add_co_u32 v52, s0, v60, v52
	s_wait_alu 0xf1ff
	v_add_co_ci_u32_e64 v53, s0, v61, v53, s0
	s_wait_loadcnt 0x3
	v_mad_co_u64_u32 v[36:37], null, s9, v55, v[37:38]
	v_mad_co_u64_u32 v[54:55], null, s8, v59, 0
	v_mov_b32_e32 v37, v51
	s_delay_alu instid0(VALU_DEP_3) | instskip(NEXT) | instid1(VALU_DEP_2)
	v_mov_b32_e32 v49, v36
	v_mad_co_u64_u32 v[56:57], null, s9, v76, v[37:38]
	v_mad_co_u64_u32 v[57:58], null, s8, v62, 0
	v_mov_b32_e32 v37, v55
	s_delay_alu instid0(VALU_DEP_4) | instskip(NEXT) | instid1(VALU_DEP_4)
	v_lshlrev_b64_e32 v[48:49], 3, v[48:49]
	v_mov_b32_e32 v51, v56
	s_delay_alu instid0(VALU_DEP_3) | instskip(SKIP_1) | instid1(VALU_DEP_4)
	v_mad_co_u64_u32 v[36:37], null, s9, v59, v[37:38]
	v_mov_b32_e32 v37, v58
	v_add_co_u32 v48, s0, v60, v48
	s_delay_alu instid0(VALU_DEP_4) | instskip(SKIP_4) | instid1(VALU_DEP_4)
	v_lshlrev_b64_e32 v[50:51], 3, v[50:51]
	s_wait_alu 0xf1ff
	v_add_co_ci_u32_e64 v49, s0, v61, v49, s0
	v_mad_co_u64_u32 v[58:59], null, s9, v62, v[37:38]
	v_mov_b32_e32 v55, v36
	v_add_co_u32 v50, s0, v60, v50
	s_wait_alu 0xf1ff
	v_add_co_ci_u32_e64 v51, s0, v61, v51, s0
	s_delay_alu instid0(VALU_DEP_3) | instskip(SKIP_1) | instid1(VALU_DEP_2)
	v_lshlrev_b64_e32 v[36:37], 3, v[54:55]
	v_lshlrev_b64_e32 v[54:55], 3, v[57:58]
	v_add_co_u32 v56, s0, v60, v36
	s_wait_alu 0xf1ff
	s_delay_alu instid0(VALU_DEP_3) | instskip(NEXT) | instid1(VALU_DEP_3)
	v_add_co_ci_u32_e64 v57, s0, v61, v37, s0
	v_add_co_u32 v54, s0, v60, v54
	s_wait_alu 0xf1ff
	v_add_co_ci_u32_e64 v55, s0, v61, v55, s0
	s_clause 0x6
	global_load_b64 v[68:69], v[32:33], off
	global_load_b64 v[36:37], v[46:47], off
	;; [unrolled: 1-line block ×7, first 2 shown]
.LBB0_13:
	s_or_b32 exec_lo, exec_lo, s1
	v_dual_add_f32 v46, v44, v20 :: v_dual_add_f32 v49, v45, v21
	v_dual_add_f32 v47, v6, v44 :: v_dual_sub_f32 v48, v45, v21
	s_delay_alu instid0(VALU_DEP_2) | instskip(SKIP_1) | instid1(VALU_DEP_4)
	v_dual_add_f32 v45, v7, v45 :: v_dual_fmac_f32 v6, -0.5, v46
	v_sub_f32_e32 v101, v44, v20
	v_dual_add_f32 v44, v12, v14 :: v_dual_fmac_f32 v7, -0.5, v49
	s_delay_alu instid0(VALU_DEP_4) | instskip(NEXT) | instid1(VALU_DEP_4)
	v_dual_add_f32 v20, v47, v20 :: v_dual_add_f32 v47, v12, v2
	v_fmamk_f32 v46, v48, 0xbf5db3d7, v6
	v_dual_add_f32 v102, v45, v21 :: v_dual_add_f32 v21, v10, v22
	s_delay_alu instid0(VALU_DEP_3) | instskip(SKIP_2) | instid1(VALU_DEP_4)
	v_dual_fmac_f32 v6, 0x3f5db3d7, v48 :: v_dual_add_f32 v45, v14, v47
	v_fmac_f32_e32 v2, -0.5, v44
	v_dual_sub_f32 v44, v13, v15 :: v_dual_add_f32 v47, v10, v4
	v_dual_fmac_f32 v4, -0.5, v21 :: v_dual_sub_f32 v21, v11, v23
	v_add_f32_e32 v50, v8, v26
	s_delay_alu instid0(VALU_DEP_3) | instskip(SKIP_4) | instid1(VALU_DEP_3)
	v_fmamk_f32 v48, v44, 0xbf5db3d7, v2
	v_fmac_f32_e32 v2, 0x3f5db3d7, v44
	v_dual_add_f32 v44, v22, v47 :: v_dual_add_f32 v47, v24, v26
	v_fmamk_f32 v49, v21, 0xbf5db3d7, v4
	v_dual_fmac_f32 v4, 0x3f5db3d7, v21 :: v_dual_add_f32 v51, v34, v18
	v_dual_add_f32 v21, v30, v34 :: v_dual_fmac_f32 v8, -0.5, v47
	v_dual_sub_f32 v47, v27, v25 :: v_dual_add_f32 v54, v16, v38
	s_wait_loadcnt 0x7
	s_delay_alu instid0(VALU_DEP_2) | instskip(SKIP_1) | instid1(VALU_DEP_3)
	v_dual_add_f32 v55, v28, v40 :: v_dual_fmac_f32 v18, -0.5, v21
	v_dual_sub_f32 v21, v35, v31 :: v_dual_add_f32 v50, v24, v50
	v_fmamk_f32 v52, v47, 0xbf5db3d7, v8
	v_fmac_f32_e32 v8, 0x3f5db3d7, v47
	v_add_f32_e32 v47, v30, v51
	v_add_f32_e32 v51, v38, v42
	v_fmamk_f32 v53, v21, 0xbf5db3d7, v18
	s_wait_loadcnt 0x6
	v_dual_fmac_f32 v18, 0x3f5db3d7, v21 :: v_dual_add_f32 v21, v68, v40
	v_add_f32_e32 v54, v54, v42
	v_fmac_f32_e32 v16, -0.5, v51
	s_wait_loadcnt 0x4
	v_dual_sub_f32 v51, v39, v43 :: v_dual_add_f32 v58, v36, v64
	v_fmac_f32_e32 v28, -0.5, v21
	v_sub_f32_e32 v21, v41, v69
	s_wait_loadcnt 0x1
	s_delay_alu instid0(VALU_DEP_3)
	v_dual_add_f32 v59, v60, v32 :: v_dual_fmamk_f32 v56, v51, 0xbf5db3d7, v16
	v_fmac_f32_e32 v16, 0x3f5db3d7, v51
	v_add_f32_e32 v51, v68, v55
	v_add_f32_e32 v55, v64, v66
	v_fmamk_f32 v57, v21, 0xbf5db3d7, v28
	s_wait_loadcnt 0x0
	v_dual_fmac_f32 v28, 0x3f5db3d7, v21 :: v_dual_add_f32 v21, v60, v62
	v_mad_u32_u24 v103, v70, 12, 0
	v_dual_fmac_f32 v36, -0.5, v55 :: v_dual_fmamk_f32 v109, v101, 0x3f5db3d7, v7
	s_delay_alu instid0(VALU_DEP_3)
	v_dual_sub_f32 v55, v65, v67 :: v_dual_fmac_f32 v32, -0.5, v21
	v_sub_f32_e32 v21, v61, v63
	v_mad_i32_i24 v81, v74, 12, 0
	v_mad_i32_i24 v82, v75, 12, 0
	;; [unrolled: 1-line block ×6, first 2 shown]
	v_dual_add_f32 v58, v58, v66 :: v_dual_fmamk_f32 v83, v55, 0xbf5db3d7, v36
	v_mad_i32_i24 v107, v77, 12, 0
	v_fmac_f32_e32 v36, 0x3f5db3d7, v55
	v_add_f32_e32 v55, v62, v59
	v_fmamk_f32 v59, v21, 0xbf5db3d7, v32
	ds_store_2addr_b32 v103, v20, v46 offset1:1
	ds_store_b32 v103, v6 offset:8
	ds_store_2addr_b32 v81, v45, v48 offset1:1
	ds_store_b32 v81, v2 offset:8
	;; [unrolled: 2-line block ×4, first 2 shown]
	v_mad_i32_i24 v108, v76, 12, 0
	v_lshlrev_b32_e32 v2, 3, v80
	v_lshlrev_b32_e32 v8, 3, v76
	v_dual_fmac_f32 v32, 0x3f5db3d7, v21 :: v_dual_lshlrev_b32 v89, 3, v75
	ds_store_2addr_b32 v104, v47, v53 offset1:1
	ds_store_b32 v104, v18 offset:8
	ds_store_2addr_b32 v105, v54, v56 offset1:1
	ds_store_b32 v105, v16 offset:8
	ds_store_2addr_b32 v106, v51, v57 offset1:1
	ds_store_b32 v106, v28 offset:8
	ds_store_2addr_b32 v107, v58, v83 offset1:1
	ds_store_b32 v107, v36 offset:8
	ds_store_2addr_b32 v108, v55, v59 offset1:1
	ds_store_b32 v108, v32 offset:8
	v_lshl_add_u32 v83, v70, 2, 0
	v_lshlrev_b32_e32 v36, 3, v74
	v_dual_fmac_f32 v7, 0xbf5db3d7, v101 :: v_dual_lshlrev_b32 v90, 3, v72
	v_lshlrev_b32_e32 v4, 3, v78
	v_lshlrev_b32_e32 v6, 3, v77
	v_sub_nc_u32_e32 v93, v108, v8
	v_add_f32_e32 v101, v13, v3
	v_sub_nc_u32_e32 v92, v104, v2
	v_lshlrev_b32_e32 v2, 3, v79
	v_add_nc_u32_e32 v84, 0x800, v83
	v_sub_nc_u32_e32 v28, v81, v36
	v_dual_sub_f32 v12, v12, v14 :: v_dual_add_nc_u32 v85, 0x1000, v83
	v_sub_nc_u32_e32 v32, v82, v89
	v_sub_nc_u32_e32 v91, v88, v90
	global_wb scope:SCOPE_SE
	s_wait_dscnt 0x0
	s_barrier_signal -1
	s_barrier_wait -1
	global_inv scope:SCOPE_SE
	v_add_nc_u32_e32 v86, 0x1400, v83
	v_dual_add_f32 v14, v15, v101 :: v_dual_add_nc_u32 v87, 0xc00, v83
	v_sub_nc_u32_e32 v94, v105, v2
	v_sub_nc_u32_e32 v95, v106, v4
	;; [unrolled: 1-line block ×3, first 2 shown]
	ds_load_b32 v100, v83
	ds_load_b32 v99, v28
	;; [unrolled: 1-line block ×8, first 2 shown]
	v_dual_sub_f32 v10, v10, v22 :: v_dual_add_nc_u32 v97, 0x1800, v83
	ds_load_b32 v2, v93
	ds_load_2addr_b32 v[58:59], v84 offset0:55 offset1:118
	ds_load_2addr_b32 v[44:45], v85 offset0:47 offset1:110
	;; [unrolled: 1-line block ×9, first 2 shown]
	global_wb scope:SCOPE_SE
	s_wait_dscnt 0x0
	s_barrier_signal -1
	s_barrier_wait -1
	global_inv scope:SCOPE_SE
	ds_store_2addr_b32 v103, v102, v109 offset1:1
	ds_store_b32 v103, v7 offset:8
	v_add_f32_e32 v7, v13, v15
	v_add_f32_e32 v13, v11, v5
	;; [unrolled: 1-line block ×5, first 2 shown]
	v_fmac_f32_e32 v3, -0.5, v7
	v_sub_f32_e32 v7, v64, v66
	v_add_f32_e32 v13, v23, v13
	v_sub_f32_e32 v23, v26, v24
	v_dual_add_f32 v15, v25, v15 :: v_dual_sub_f32 v26, v34, v30
	v_dual_add_f32 v25, v31, v35 :: v_dual_add_f32 v34, v29, v41
	v_dual_add_f32 v24, v35, v19 :: v_dual_add_f32 v35, v69, v41
	v_add_f32_e32 v27, v17, v39
	v_dual_add_f32 v30, v39, v43 :: v_dual_add_f32 v39, v37, v65
	s_delay_alu instid0(VALU_DEP_4) | instskip(NEXT) | instid1(VALU_DEP_4)
	v_add_f32_e32 v34, v69, v34
	v_dual_add_f32 v24, v31, v24 :: v_dual_sub_f32 v31, v38, v42
	s_delay_alu instid0(VALU_DEP_4)
	v_dual_add_f32 v27, v27, v43 :: v_dual_sub_f32 v38, v40, v68
	v_dual_add_f32 v40, v65, v67 :: v_dual_fmamk_f32 v43, v12, 0x3f5db3d7, v3
	v_fmac_f32_e32 v5, -0.5, v11
	v_fmac_f32_e32 v17, -0.5, v30
	v_and_b32_e32 v30, 0xff, v70
	v_fmac_f32_e32 v3, 0xbf5db3d7, v12
	ds_store_2addr_b32 v81, v14, v43 offset1:1
	ds_store_b32 v81, v3 offset:8
	v_mul_lo_u16 v3, 0xab, v30
	v_fmac_f32_e32 v9, -0.5, v22
	v_dual_add_f32 v39, v39, v67 :: v_dual_fmamk_f32 v12, v10, 0x3f5db3d7, v5
	v_fmac_f32_e32 v5, 0xbf5db3d7, v10
	s_delay_alu instid0(VALU_DEP_4) | instskip(NEXT) | instid1(VALU_DEP_4)
	v_lshrrev_b16 v3, 9, v3
	v_dual_add_f32 v41, v61, v33 :: v_dual_fmamk_f32 v10, v23, 0x3f5db3d7, v9
	v_fmac_f32_e32 v9, 0xbf5db3d7, v23
	ds_store_2addr_b32 v82, v13, v12 offset1:1
	ds_store_b32 v82, v5 offset:8
	ds_store_2addr_b32 v88, v15, v10 offset1:1
	ds_store_b32 v88, v9 offset:8
	v_mul_lo_u16 v5, v3, 3
	v_dual_add_f32 v42, v61, v63 :: v_dual_sub_f32 v11, v60, v62
	v_fmac_f32_e32 v19, -0.5, v25
	v_fmac_f32_e32 v29, -0.5, v35
	s_delay_alu instid0(VALU_DEP_4) | instskip(SKIP_3) | instid1(VALU_DEP_4)
	v_sub_nc_u16 v9, v70, v5
	v_fmac_f32_e32 v37, -0.5, v40
	v_fmac_f32_e32 v33, -0.5, v42
	v_dual_add_f32 v41, v63, v41 :: v_dual_fmamk_f32 v22, v26, 0x3f5db3d7, v19
	v_and_b32_e32 v10, 0xff, v9
	v_fmamk_f32 v23, v31, 0x3f5db3d7, v17
	v_fmac_f32_e32 v17, 0xbf5db3d7, v31
	v_and_b32_e32 v31, 0xff, v74
	v_fmac_f32_e32 v19, 0xbf5db3d7, v26
	v_fmamk_f32 v14, v7, 0x3f5db3d7, v37
	v_fmac_f32_e32 v37, 0xbf5db3d7, v7
	v_fmamk_f32 v7, v11, 0x3f5db3d7, v33
	v_mul_lo_u16 v5, 0xab, v31
	v_and_b32_e32 v26, 0xffff, v77
	v_fmamk_f32 v25, v38, 0x3f5db3d7, v29
	v_fmac_f32_e32 v29, 0xbf5db3d7, v38
	v_fmac_f32_e32 v33, 0xbf5db3d7, v11
	v_lshrrev_b16 v5, 9, v5
	ds_store_2addr_b32 v104, v24, v22 offset1:1
	ds_store_b32 v104, v19 offset:8
	ds_store_2addr_b32 v105, v27, v23 offset1:1
	ds_store_b32 v105, v17 offset:8
	ds_store_2addr_b32 v106, v34, v25 offset1:1
	ds_store_b32 v106, v29 offset:8
	ds_store_2addr_b32 v107, v39, v14 offset1:1
	ds_store_b32 v107, v37 offset:8
	v_and_b32_e32 v22, 0xff, v75
	ds_store_2addr_b32 v108, v41, v7 offset1:1
	ds_store_b32 v108, v33 offset:8
	v_mul_lo_u16 v7, v5, 3
	v_and_b32_e32 v23, 0xff, v72
	v_and_b32_e32 v24, 0xffff, v80
	v_mul_lo_u16 v9, 0xab, v22
	v_lshlrev_b32_e32 v12, 4, v10
	v_sub_nc_u16 v7, v74, v7
	v_mul_lo_u16 v13, 0xab, v23
	v_mul_u32_u24_e32 v17, 0xaaab, v24
	v_lshrrev_b16 v9, 9, v9
	global_wb scope:SCOPE_SE
	s_wait_dscnt 0x0
	v_and_b32_e32 v11, 0xff, v7
	v_lshrrev_b16 v7, 9, v13
	s_barrier_signal -1
	v_mul_lo_u16 v14, v9, 3
	s_barrier_wait -1
	v_lshlrev_b32_e32 v13, 4, v11
	v_mul_lo_u16 v15, v7, 3
	global_inv scope:SCOPE_SE
	v_sub_nc_u16 v14, v75, v14
	s_clause 0x1
	global_load_b128 v[37:40], v12, s[4:5]
	global_load_b128 v[60:63], v13, s[4:5]
	v_lshrrev_b32_e32 v13, 17, v17
	v_sub_nc_u16 v15, v72, v15
	v_cmp_gt_u32_e64 s0, 18, v70
	v_and_b32_e32 v43, 0xff, v14
	v_sub_nc_u32_e32 v89, 0, v89
	v_lshlrev_b32_e32 v10, 2, v10
	v_and_b32_e32 v17, 0xff, v15
	v_mul_lo_u16 v15, v13, 3
	v_lshlrev_b32_e32 v14, 4, v43
	s_delay_alu instid0(VALU_DEP_3) | instskip(NEXT) | instid1(VALU_DEP_3)
	v_lshlrev_b32_e32 v33, 4, v17
	v_sub_nc_u16 v15, v80, v15
	s_clause 0x1
	global_load_b128 v[64:67], v14, s[4:5]
	global_load_b128 v[101:104], v33, s[4:5]
	v_and_b32_e32 v25, 0xffff, v79
	v_and_b32_e32 v27, 0xffff, v78
	v_mul_u32_u24_e32 v14, 0xaaab, v26
	v_and_b32_e32 v134, 0xffff, v15
	s_delay_alu instid0(VALU_DEP_4) | instskip(NEXT) | instid1(VALU_DEP_4)
	v_mul_u32_u24_e32 v19, 0xaaab, v25
	v_mul_u32_u24_e32 v29, 0xaaab, v27
	s_delay_alu instid0(VALU_DEP_4) | instskip(NEXT) | instid1(VALU_DEP_4)
	v_lshrrev_b32_e32 v135, 17, v14
	v_lshlrev_b32_e32 v14, 4, v134
	s_delay_alu instid0(VALU_DEP_4) | instskip(NEXT) | instid1(VALU_DEP_4)
	v_lshrrev_b32_e32 v12, 17, v19
	v_lshrrev_b32_e32 v133, 17, v29
	s_delay_alu instid0(VALU_DEP_4) | instskip(SKIP_4) | instid1(VALU_DEP_2)
	v_mul_lo_u16 v34, v135, 3
	v_and_b32_e32 v29, 0xffff, v76
	global_load_b128 v[105:108], v14, s[4:5]
	v_mul_lo_u16 v19, v12, 3
	v_mul_lo_u16 v15, v133, 3
	v_sub_nc_u16 v19, v79, v19
	s_delay_alu instid0(VALU_DEP_2) | instskip(NEXT) | instid1(VALU_DEP_2)
	v_sub_nc_u16 v15, v78, v15
	v_and_b32_e32 v19, 0xffff, v19
	s_delay_alu instid0(VALU_DEP_2) | instskip(SKIP_1) | instid1(VALU_DEP_3)
	v_and_b32_e32 v136, 0xffff, v15
	v_mul_u32_u24_e32 v15, 0xaaab, v29
	v_lshlrev_b32_e32 v33, 4, v19
	s_delay_alu instid0(VALU_DEP_2) | instskip(SKIP_4) | instid1(VALU_DEP_3)
	v_lshrrev_b32_e32 v138, 17, v15
	global_load_b128 v[109:112], v33, s[4:5]
	v_sub_nc_u16 v14, v77, v34
	v_lshlrev_b32_e32 v33, 4, v136
	v_mul_lo_u16 v15, v138, 3
	v_and_b32_e32 v137, 0xffff, v14
	global_load_b128 v[113:116], v33, s[4:5]
	v_lshlrev_b32_e32 v14, 4, v137
	global_load_b128 v[117:120], v14, s[4:5]
	v_sub_nc_u16 v14, v76, v15
	s_delay_alu instid0(VALU_DEP_1) | instskip(NEXT) | instid1(VALU_DEP_1)
	v_and_b32_e32 v139, 0xffff, v14
	v_lshlrev_b32_e32 v14, 4, v139
	global_load_b128 v[121:124], v14, s[4:5]
	ds_load_2addr_b32 v[14:15], v84 offset0:55 offset1:118
	ds_load_2addr_b32 v[33:34], v85 offset0:47 offset1:110
	;; [unrolled: 1-line block ×8, first 2 shown]
	s_wait_loadcnt_dscnt 0x807
	v_mul_f32_e32 v140, v14, v38
	v_mul_f32_e32 v35, v58, v38
	s_wait_dscnt 0x6
	v_mul_f32_e32 v38, v34, v40
	v_mul_f32_e32 v40, v45, v40
	v_fmac_f32_e32 v140, v58, v37
	v_fma_f32 v14, v14, v37, -v35
	s_wait_loadcnt 0x7
	v_dual_fmac_f32 v38, v45, v39 :: v_dual_mul_f32 v141, v15, v61
	v_fma_f32 v37, v34, v39, -v40
	v_mul_f32_e32 v39, v59, v61
	ds_load_2addr_b32 v[34:35], v97 offset0:39 offset1:102
	v_dual_mul_f32 v40, v56, v63 :: v_dual_fmac_f32 v141, v59, v60
	s_wait_dscnt 0x6
	v_mul_f32_e32 v45, v41, v63
	v_fma_f32 v59, v15, v60, -v39
	s_wait_loadcnt_dscnt 0x605
	v_mul_f32_e32 v60, v68, v65
	s_wait_loadcnt 0x5
	v_dual_mul_f32 v58, v42, v67 :: v_dual_mul_f32 v61, v69, v102
	s_delay_alu instid0(VALU_DEP_2)
	v_dual_fmac_f32 v60, v54, v64 :: v_dual_and_b32 v3, 0xffff, v3
	v_fmac_f32_e32 v45, v56, v62
	v_fma_f32 v56, v41, v62, -v40
	s_wait_dscnt 0x4
	v_mul_f32_e32 v62, v125, v104
	v_mul_f32_e32 v40, v55, v102
	v_fmac_f32_e32 v61, v55, v101
	v_mul_f32_e32 v15, v57, v67
	v_mul_f32_e32 v41, v52, v104
	v_dual_fmac_f32 v62, v52, v103 :: v_dual_mul_f32 v39, v54, v65
	v_fmac_f32_e32 v58, v57, v66
	s_delay_alu instid0(VALU_DEP_4)
	v_fma_f32 v42, v42, v66, -v15
	s_wait_loadcnt 0x4
	v_mul_f32_e32 v57, v126, v108
	v_mul_f32_e32 v15, v53, v108
	v_fma_f32 v54, v68, v64, -v39
	v_fma_f32 v68, v69, v101, -v40
	;; [unrolled: 1-line block ×3, first 2 shown]
	v_fmac_f32_e32 v57, v53, v107
	v_fma_f32 v53, v126, v107, -v15
	s_wait_dscnt 0x3
	v_mul_f32_e32 v63, v127, v106
	v_mul_f32_e32 v39, v50, v106
	v_mul_u32_u24_e32 v3, 36, v3
	v_and_b32_e32 v5, 0xffff, v5
	s_delay_alu instid0(VALU_DEP_4) | instskip(NEXT) | instid1(VALU_DEP_4)
	v_fmac_f32_e32 v63, v50, v105
	v_fma_f32 v50, v127, v105, -v39
	s_delay_alu instid0(VALU_DEP_4) | instskip(NEXT) | instid1(VALU_DEP_4)
	v_add3_u32 v104, 0, v3, v10
	v_mul_u32_u24_e32 v5, 36, v5
	s_wait_loadcnt_dscnt 0x302
	v_mul_f32_e32 v66, v129, v112
	v_mul_f32_e32 v55, v48, v112
	;; [unrolled: 1-line block ×3, first 2 shown]
	s_delay_alu instid0(VALU_DEP_3) | instskip(NEXT) | instid1(VALU_DEP_3)
	v_fmac_f32_e32 v66, v48, v111
	v_fma_f32 v48, v129, v111, -v55
	s_wait_loadcnt_dscnt 0x201
	v_dual_mul_f32 v69, v131, v114 :: v_dual_mul_f32 v40, v49, v116
	v_mul_f32_e32 v65, v51, v110
	v_dual_fmac_f32 v64, v51, v109 :: v_dual_mul_f32 v101, v46, v114
	s_delay_alu instid0(VALU_DEP_3) | instskip(NEXT) | instid1(VALU_DEP_3)
	v_fmac_f32_e32 v69, v46, v113
	v_fma_f32 v51, v128, v109, -v65
	s_wait_loadcnt 0x1
	v_mul_f32_e32 v41, v132, v118
	v_fma_f32 v46, v131, v113, -v101
	ds_load_b32 v105, v83
	ds_load_b32 v106, v28
	;; [unrolled: 1-line block ×9, first 2 shown]
	global_wb scope:SCOPE_SE
	s_wait_loadcnt_dscnt 0x0
	s_barrier_signal -1
	v_fmac_f32_e32 v41, v47, v117
	v_mul_f32_e32 v15, v47, v118
	s_barrier_wait -1
	global_inv scope:SCOPE_SE
	v_fma_f32 v65, v132, v117, -v15
	v_dual_mul_f32 v102, v35, v124 :: v_dual_mul_f32 v15, v44, v122
	s_delay_alu instid0(VALU_DEP_1) | instskip(SKIP_1) | instid1(VALU_DEP_1)
	v_fmac_f32_e32 v102, v21, v123
	v_mul_f32_e32 v55, v33, v122
	v_fmac_f32_e32 v55, v44, v121
	v_mul_f32_e32 v47, v34, v120
	v_mul_f32_e32 v39, v20, v120
	v_fma_f32 v44, v33, v121, -v15
	v_mul_f32_e32 v15, v21, v124
	v_add_f32_e32 v33, v100, v140
	v_fmac_f32_e32 v47, v20, v119
	v_dual_add_f32 v20, v140, v38 :: v_dual_add_f32 v121, v59, v56
	s_delay_alu instid0(VALU_DEP_4) | instskip(SKIP_1) | instid1(VALU_DEP_3)
	v_fma_f32 v103, v35, v123, -v15
	v_sub_f32_e32 v15, v14, v37
	v_dual_add_f32 v3, v33, v38 :: v_dual_fmac_f32 v100, -0.5, v20
	v_lshlrev_b32_e32 v11, 2, v11
	s_delay_alu instid0(VALU_DEP_2)
	v_fmamk_f32 v21, v15, 0xbf5db3d7, v100
	v_fmac_f32_e32 v100, 0x3f5db3d7, v15
	v_add_f32_e32 v10, v141, v45
	v_add_f32_e32 v20, v99, v141
	ds_store_2addr_b32 v104, v3, v21 offset1:3
	v_and_b32_e32 v3, 0xffff, v9
	v_dual_fmac_f32 v99, -0.5, v10 :: v_dual_sub_f32 v10, v59, v56
	v_dual_add_f32 v59, v106, v59 :: v_dual_fmac_f32 v106, -0.5, v121
	v_add3_u32 v114, 0, v5, v11
	s_delay_alu instid0(VALU_DEP_4) | instskip(NEXT) | instid1(VALU_DEP_3)
	v_mul_u32_u24_e32 v3, 36, v3
	v_dual_add_f32 v56, v59, v56 :: v_dual_lshlrev_b32 v9, 2, v43
	v_fmamk_f32 v11, v10, 0xbf5db3d7, v99
	v_dual_fmac_f32 v99, 0x3f5db3d7, v10 :: v_dual_add_f32 v10, v98, v60
	v_add_f32_e32 v5, v20, v45
	v_sub_f32_e32 v45, v141, v45
	v_add3_u32 v43, 0, v3, v9
	s_delay_alu instid0(VALU_DEP_4) | instskip(SKIP_1) | instid1(VALU_DEP_4)
	v_add_f32_e32 v3, v10, v58
	v_add_f32_e32 v10, v61, v62
	v_fmamk_f32 v59, v45, 0x3f5db3d7, v106
	v_fmac_f32_e32 v106, 0xbf5db3d7, v45
	ds_store_b32 v104, v100 offset:24
	ds_store_2addr_b32 v114, v5, v11 offset1:3
	v_add_f32_e32 v5, v60, v58
	ds_store_b32 v114, v99 offset:24
	v_dual_sub_f32 v58, v60, v58 :: v_dual_lshlrev_b32 v11, 2, v17
	v_dual_fmac_f32 v98, -0.5, v5 :: v_dual_sub_f32 v5, v54, v42
	s_delay_alu instid0(VALU_DEP_1)
	v_fmamk_f32 v9, v5, 0xbf5db3d7, v98
	v_fmac_f32_e32 v98, 0x3f5db3d7, v5
	v_dual_add_f32 v5, v18, v61 :: v_dual_fmac_f32 v18, -0.5, v10
	v_sub_f32_e32 v10, v68, v52
	ds_store_2addr_b32 v43, v3, v9 offset1:3
	ds_store_b32 v43, v98 offset:24
	v_mul_u32_u24_e32 v9, 36, v13
	v_add_f32_e32 v3, v5, v62
	v_lshlrev_b32_e32 v13, 2, v136
	v_fmamk_f32 v5, v10, 0xbf5db3d7, v18
	v_fmac_f32_e32 v18, 0x3f5db3d7, v10
	v_and_b32_e32 v7, 0xffff, v7
	v_lshlrev_b32_e32 v10, 2, v134
	s_delay_alu instid0(VALU_DEP_2) | instskip(NEXT) | instid1(VALU_DEP_2)
	v_mul_u32_u24_e32 v7, 36, v7
	v_add3_u32 v99, 0, v9, v10
	v_mul_u32_u24_e32 v9, 36, v12
	v_lshlrev_b32_e32 v10, 2, v19
	s_delay_alu instid0(VALU_DEP_4) | instskip(SKIP_2) | instid1(VALU_DEP_4)
	v_add3_u32 v98, 0, v7, v11
	v_add_f32_e32 v7, v63, v57
	v_add_f32_e32 v11, v16, v63
	v_add3_u32 v100, 0, v9, v10
	v_sub_f32_e32 v9, v51, v48
	ds_store_2addr_b32 v98, v3, v5 offset1:3
	v_dual_fmac_f32 v16, -0.5, v7 :: v_dual_sub_f32 v5, v50, v53
	v_mul_f32_e32 v67, v130, v116
	v_add_f32_e32 v7, v64, v66
	v_add_f32_e32 v3, v11, v57
	;; [unrolled: 1-line block ×3, first 2 shown]
	v_fmamk_f32 v12, v5, 0xbf5db3d7, v16
	v_fmac_f32_e32 v67, v49, v115
	v_fma_f32 v49, v130, v115, -v40
	v_dual_add_f32 v11, v8, v64 :: v_dual_fmac_f32 v8, -0.5, v7
	s_delay_alu instid0(VALU_DEP_3)
	v_dual_fmac_f32 v16, 0x3f5db3d7, v5 :: v_dual_add_f32 v7, v69, v67
	ds_store_b32 v98, v18 offset:24
	v_add_f32_e32 v5, v11, v66
	v_mul_u32_u24_e32 v11, 36, v133
	v_fmamk_f32 v15, v9, 0xbf5db3d7, v8
	v_dual_fmac_f32 v6, -0.5, v7 :: v_dual_sub_f32 v7, v46, v49
	v_fmac_f32_e32 v8, 0x3f5db3d7, v9
	s_delay_alu instid0(VALU_DEP_4) | instskip(NEXT) | instid1(VALU_DEP_3)
	v_add3_u32 v115, 0, v11, v13
	v_dual_add_f32 v9, v10, v67 :: v_dual_fmamk_f32 v10, v7, 0xbf5db3d7, v6
	v_fmac_f32_e32 v6, 0x3f5db3d7, v7
	ds_store_2addr_b32 v99, v3, v12 offset1:3
	ds_store_b32 v99, v16 offset:24
	ds_store_2addr_b32 v100, v5, v15 offset1:3
	ds_store_b32 v100, v8 offset:24
	ds_store_2addr_b32 v115, v9, v10 offset1:3
	v_mul_u32_u24_e32 v5, 36, v135
	v_lshlrev_b32_e32 v7, 2, v137
	v_add_f32_e32 v8, v4, v41
	ds_store_b32 v115, v6 offset:24
	v_add_f32_e32 v6, v55, v102
	v_mul_u32_u24_e32 v9, 36, v138
	v_add3_u32 v116, 0, v5, v7
	v_add_f32_e32 v5, v8, v47
	v_add_f32_e32 v8, v2, v55
	v_fma_f32 v101, v34, v119, -v39
	v_dual_fmac_f32 v2, -0.5, v6 :: v_dual_add_f32 v3, v41, v47
	v_lshlrev_b32_e32 v10, 2, v139
	v_sub_f32_e32 v6, v44, v103
	s_delay_alu instid0(VALU_DEP_3) | instskip(SKIP_1) | instid1(VALU_DEP_4)
	v_dual_sub_f32 v119, v140, v38 :: v_dual_fmac_f32 v4, -0.5, v3
	v_sub_f32_e32 v3, v65, v101
	v_add3_u32 v117, 0, v9, v10
	s_delay_alu instid0(VALU_DEP_2)
	v_fmamk_f32 v7, v3, 0xbf5db3d7, v4
	v_dual_fmac_f32 v4, 0x3f5db3d7, v3 :: v_dual_add_f32 v3, v8, v102
	v_add_f32_e32 v8, v14, v37
	ds_store_2addr_b32 v116, v5, v7 offset1:3
	v_add_f32_e32 v7, v105, v14
	v_fmamk_f32 v5, v6, 0xbf5db3d7, v2
	v_dual_fmac_f32 v105, -0.5, v8 :: v_dual_fmac_f32 v2, 0x3f5db3d7, v6
	ds_store_b32 v116, v4 offset:24
	v_add_f32_e32 v118, v7, v37
	ds_store_2addr_b32 v117, v3, v5 offset1:3
	v_fmamk_f32 v120, v119, 0x3f5db3d7, v105
	ds_store_b32 v117, v2 offset:24
	global_wb scope:SCOPE_SE
	s_wait_dscnt 0x0
	s_barrier_signal -1
	s_barrier_wait -1
	global_inv scope:SCOPE_SE
	ds_load_b32 v40, v83
	ds_load_b32 v39, v28
	;; [unrolled: 1-line block ×9, first 2 shown]
	ds_load_2addr_b32 v[18:19], v84 offset0:55 offset1:118
	ds_load_2addr_b32 v[4:5], v85 offset0:47 offset1:110
	;; [unrolled: 1-line block ×9, first 2 shown]
	global_wb scope:SCOPE_SE
	s_wait_dscnt 0x0
	s_barrier_signal -1
	s_barrier_wait -1
	global_inv scope:SCOPE_SE
	ds_store_2addr_b32 v104, v118, v120 offset1:3
	v_add_f32_e32 v118, v54, v42
	v_dual_add_f32 v54, v107, v54 :: v_dual_fmac_f32 v105, 0xbf5db3d7, v119
	ds_store_b32 v104, v105 offset:24
	ds_store_2addr_b32 v114, v56, v59 offset1:3
	ds_store_b32 v114, v106 offset:24
	v_fmac_f32_e32 v107, -0.5, v118
	v_add_f32_e32 v42, v54, v42
	v_add_f32_e32 v54, v68, v52
	v_dual_add_f32 v56, v112, v65 :: v_dual_sub_f32 v41, v41, v47
	s_delay_alu instid0(VALU_DEP_4) | instskip(SKIP_2) | instid1(VALU_DEP_4)
	v_fmamk_f32 v45, v58, 0x3f5db3d7, v107
	v_fmac_f32_e32 v107, 0xbf5db3d7, v58
	v_mul_u32_u24_e32 v59, 0xe38f, v24
	v_add_f32_e32 v47, v56, v101
	v_mul_u32_u24_e32 v106, 0xe38f, v29
	ds_store_2addr_b32 v43, v42, v45 offset1:3
	v_dual_add_f32 v42, v50, v53 :: v_dual_add_f32 v45, v108, v68
	v_fmac_f32_e32 v108, -0.5, v54
	v_sub_f32_e32 v54, v61, v62
	v_add_f32_e32 v50, v109, v50
	s_delay_alu instid0(VALU_DEP_4) | instskip(NEXT) | instid1(VALU_DEP_3)
	v_dual_fmac_f32 v109, -0.5, v42 :: v_dual_sub_f32 v42, v63, v57
	v_dual_add_f32 v45, v45, v52 :: v_dual_fmamk_f32 v52, v54, 0x3f5db3d7, v108
	v_fmac_f32_e32 v108, 0xbf5db3d7, v54
	s_delay_alu instid0(VALU_DEP_4) | instskip(NEXT) | instid1(VALU_DEP_4)
	v_dual_add_f32 v50, v50, v53 :: v_dual_add_f32 v53, v51, v48
	v_fmamk_f32 v54, v42, 0x3f5db3d7, v109
	v_dual_fmac_f32 v109, 0xbf5db3d7, v42 :: v_dual_add_f32 v42, v46, v49
	v_dual_add_f32 v46, v111, v46 :: v_dual_add_f32 v51, v110, v51
	s_delay_alu instid0(VALU_DEP_4) | instskip(NEXT) | instid1(VALU_DEP_3)
	v_dual_fmac_f32 v110, -0.5, v53 :: v_dual_sub_f32 v53, v64, v66
	v_dual_fmac_f32 v111, -0.5, v42 :: v_dual_sub_f32 v42, v69, v67
	s_delay_alu instid0(VALU_DEP_3) | instskip(NEXT) | instid1(VALU_DEP_4)
	v_add_f32_e32 v46, v46, v49
	v_dual_add_f32 v49, v65, v101 :: v_dual_add_f32 v48, v51, v48
	s_delay_alu instid0(VALU_DEP_4)
	v_fmamk_f32 v51, v53, 0x3f5db3d7, v110
	v_fmac_f32_e32 v110, 0xbf5db3d7, v53
	v_fmamk_f32 v53, v42, 0x3f5db3d7, v111
	v_dual_fmac_f32 v111, 0xbf5db3d7, v42 :: v_dual_add_f32 v42, v44, v103
	v_fmac_f32_e32 v112, -0.5, v49
	v_mul_lo_u16 v49, v30, 57
	v_add_f32_e32 v44, v113, v44
	ds_store_b32 v43, v107 offset:24
	ds_store_2addr_b32 v98, v45, v52 offset1:3
	ds_store_b32 v98, v108 offset:24
	v_fmac_f32_e32 v113, -0.5, v42
	v_dual_sub_f32 v42, v55, v102 :: v_dual_fmamk_f32 v55, v41, 0x3f5db3d7, v112
	v_fmac_f32_e32 v112, 0xbf5db3d7, v41
	v_lshrrev_b16 v41, 9, v49
	v_mul_lo_u16 v43, v31, 57
	s_delay_alu instid0(VALU_DEP_4) | instskip(SKIP_1) | instid1(VALU_DEP_4)
	v_fmamk_f32 v57, v42, 0x3f5db3d7, v113
	v_dual_fmac_f32 v113, 0xbf5db3d7, v42 :: v_dual_add_f32 v56, v44, v103
	v_mul_lo_u16 v42, v41, 9
	v_mul_lo_u16 v45, v22, 57
	ds_store_2addr_b32 v99, v50, v54 offset1:3
	ds_store_b32 v99, v109 offset:24
	ds_store_2addr_b32 v100, v48, v51 offset1:3
	ds_store_b32 v100, v110 offset:24
	;; [unrolled: 2-line block ×3, first 2 shown]
	v_sub_nc_u16 v44, v70, v42
	v_lshrrev_b16 v42, 9, v43
	ds_store_2addr_b32 v116, v47, v55 offset1:3
	ds_store_b32 v116, v112 offset:24
	v_mul_lo_u16 v46, v23, 57
	v_lshrrev_b16 v45, 9, v45
	v_and_b32_e32 v44, 0xff, v44
	v_mul_lo_u16 v43, v42, 9
	ds_store_2addr_b32 v117, v56, v57 offset1:3
	ds_store_b32 v117, v113 offset:24
	global_wb scope:SCOPE_SE
	s_wait_dscnt 0x0
	v_lshlrev_b32_e32 v48, 4, v44
	v_sub_nc_u16 v47, v74, v43
	v_lshrrev_b16 v43, 9, v46
	s_barrier_signal -1
	s_barrier_wait -1
	global_inv scope:SCOPE_SE
	v_and_b32_e32 v46, 0xff, v47
	v_mul_lo_u16 v47, v45, 9
	v_mul_lo_u16 v49, v43, 9
	global_load_b128 v[51:54], v48, s[4:5] offset:48
	v_mul_u32_u24_e32 v69, 0xe38f, v27
	v_lshlrev_b32_e32 v50, 4, v46
	v_sub_nc_u16 v47, v75, v47
	v_sub_nc_u16 v60, v72, v49
	v_lshrrev_b32_e32 v133, 19, v106
	v_lshrrev_b32_e32 v69, 19, v69
	global_load_b128 v[55:58], v50, s[4:5] offset:48
	v_and_b32_e32 v49, 0xff, v47
	v_lshrrev_b32_e32 v47, 19, v59
	v_mul_u32_u24_e32 v48, 0xe38f, v25
	v_and_b32_e32 v50, 0xff, v60
	v_mul_lo_u16 v30, v30, 19
	s_delay_alu instid0(VALU_DEP_4) | instskip(NEXT) | instid1(VALU_DEP_4)
	v_mul_lo_u16 v63, v47, 9
	v_lshrrev_b32_e32 v48, 19, v48
	s_delay_alu instid0(VALU_DEP_4) | instskip(NEXT) | instid1(VALU_DEP_3)
	v_lshlrev_b32_e32 v64, 4, v50
	v_sub_nc_u16 v67, v80, v63
	s_delay_alu instid0(VALU_DEP_3) | instskip(SKIP_4) | instid1(VALU_DEP_3)
	v_mul_lo_u16 v68, v48, 9
	global_load_b128 v[63:66], v64, s[4:5] offset:48
	v_and_b32_e32 v130, 0xffff, v67
	v_sub_nc_u16 v67, v79, v68
	v_mul_u32_u24_e32 v68, 0xe38f, v26
	v_lshlrev_b32_e32 v98, 4, v130
	s_delay_alu instid0(VALU_DEP_3) | instskip(SKIP_1) | instid1(VALU_DEP_4)
	v_and_b32_e32 v131, 0xffff, v67
	v_mul_lo_u16 v67, v69, 9
	v_lshrrev_b32_e32 v132, 19, v68
	global_load_b128 v[98:101], v98, s[4:5] offset:48
	v_lshlrev_b32_e32 v68, 4, v131
	v_sub_nc_u16 v67, v78, v67
	v_mul_lo_u16 v107, v132, 9
	global_load_b128 v[102:105], v68, s[4:5] offset:48
	v_and_b32_e32 v134, 0xffff, v67
	v_sub_nc_u16 v67, v77, v107
	v_mul_lo_u16 v68, v133, 9
	s_delay_alu instid0(VALU_DEP_3) | instskip(NEXT) | instid1(VALU_DEP_3)
	v_lshlrev_b32_e32 v106, 4, v134
	v_and_b32_e32 v135, 0xffff, v67
	s_delay_alu instid0(VALU_DEP_3)
	v_sub_nc_u16 v67, v76, v68
	global_load_b128 v[106:109], v106, s[4:5] offset:48
	v_lshlrev_b32_e32 v59, 4, v49
	v_lshlrev_b32_e32 v68, 4, v135
	v_and_b32_e32 v136, 0xffff, v67
	s_clause 0x1
	global_load_b128 v[59:62], v59, s[4:5] offset:48
	global_load_b128 v[110:113], v68, s[4:5] offset:48
	v_lshlrev_b32_e32 v67, 4, v136
	global_load_b128 v[114:117], v67, s[4:5] offset:48
	ds_load_2addr_b32 v[67:68], v84 offset0:55 offset1:118
	ds_load_2addr_b32 v[118:119], v85 offset0:47 offset1:110
	;; [unrolled: 1-line block ×7, first 2 shown]
	s_wait_loadcnt_dscnt 0x806
	v_mul_f32_e32 v137, v67, v52
	v_mul_f32_e32 v52, v18, v52
	s_wait_dscnt 0x5
	v_mul_f32_e32 v138, v119, v54
	s_delay_alu instid0(VALU_DEP_3) | instskip(NEXT) | instid1(VALU_DEP_3)
	v_dual_mul_f32 v54, v5, v54 :: v_dual_fmac_f32 v137, v18, v51
	v_fma_f32 v18, v67, v51, -v52
	s_wait_loadcnt_dscnt 0x704
	v_mul_f32_e32 v140, v120, v58
	v_dual_mul_f32 v51, v16, v58 :: v_dual_fmac_f32 v138, v5, v53
	v_fma_f32 v5, v119, v53, -v54
	v_mul_f32_e32 v139, v68, v56
	s_delay_alu instid0(VALU_DEP_4) | instskip(NEXT) | instid1(VALU_DEP_4)
	v_fmac_f32_e32 v140, v16, v57
	v_fma_f32 v51, v120, v57, -v51
	v_mul_f32_e32 v56, v19, v56
	s_wait_loadcnt 0x6
	v_mul_f32_e32 v16, v12, v66
	s_wait_dscnt 0x2
	v_dual_mul_f32 v57, v124, v66 :: v_dual_mul_f32 v58, v123, v64
	s_delay_alu instid0(VALU_DEP_1)
	v_dual_fmac_f32 v57, v12, v65 :: v_dual_fmac_f32 v58, v15, v63
	s_wait_loadcnt 0x5
	v_mul_f32_e32 v12, v13, v101
	s_wait_loadcnt 0x2
	v_mul_f32_e32 v52, v121, v62
	v_mul_f32_e32 v53, v17, v62
	v_fma_f32 v62, v124, v65, -v16
	s_wait_dscnt 0x0
	v_dual_mul_f32 v16, v10, v99 :: v_dual_mul_f32 v65, v128, v105
	v_fmac_f32_e32 v52, v17, v61
	v_fma_f32 v53, v121, v61, -v53
	v_mul_f32_e32 v61, v126, v99
	s_delay_alu instid0(VALU_DEP_4) | instskip(SKIP_4) | instid1(VALU_DEP_4)
	v_fma_f32 v66, v126, v98, -v16
	v_mul_f32_e32 v16, v8, v105
	v_mul_f32_e32 v54, v122, v60
	v_fmac_f32_e32 v65, v8, v104
	v_dual_fmac_f32 v61, v10, v98 :: v_dual_mul_f32 v8, v9, v109
	v_fma_f32 v98, v128, v104, -v16
	s_wait_loadcnt 0x0
	v_mul_f32_e32 v104, v118, v115
	v_fmac_f32_e32 v54, v14, v59
	v_mul_f32_e32 v10, v11, v103
	s_delay_alu instid0(VALU_DEP_3)
	v_dual_fmac_f32 v104, v4, v114 :: v_dual_fmac_f32 v139, v19, v55
	v_mul_f32_e32 v19, v14, v60
	v_mul_f32_e32 v14, v15, v64
	v_fma_f32 v55, v68, v55, -v56
	v_mul_f32_e32 v60, v125, v101
	v_fma_f32 v101, v129, v108, -v8
	v_fma_f32 v56, v122, v59, -v19
	;; [unrolled: 1-line block ×3, first 2 shown]
	ds_load_2addr_b32 v[14:15], v87 offset0:177 offset1:240
	v_fmac_f32_e32 v60, v13, v100
	v_fma_f32 v63, v125, v100, -v12
	ds_load_2addr_b32 v[12:13], v97 offset0:39 offset1:102
	v_add_f32_e32 v8, v40, v137
	v_fma_f32 v67, v127, v102, -v10
	v_mul_f32_e32 v10, v6, v107
	v_mul_f32_e32 v64, v127, v103
	;; [unrolled: 1-line block ×3, first 2 shown]
	v_add_f32_e32 v120, v55, v51
	s_delay_alu instid0(VALU_DEP_3) | instskip(SKIP_1) | instid1(VALU_DEP_3)
	v_fmac_f32_e32 v64, v11, v102
	s_wait_dscnt 0x1
	v_dual_fmac_f32 v68, v9, v108 :: v_dual_mul_f32 v99, v14, v107
	v_mul_f32_e32 v100, v15, v111
	v_fma_f32 v102, v14, v106, -v10
	s_wait_dscnt 0x0
	v_mul_f32_e32 v103, v12, v113
	v_mul_f32_e32 v107, v13, v117
	v_dual_fmac_f32 v99, v6, v106 :: v_dual_mul_f32 v6, v7, v111
	v_dual_fmac_f32 v100, v7, v110 :: v_dual_mul_f32 v7, v2, v113
	s_delay_alu instid0(VALU_DEP_4) | instskip(NEXT) | instid1(VALU_DEP_3)
	v_dual_fmac_f32 v103, v2, v112 :: v_dual_and_b32 v2, 0xffff, v41
	v_fma_f32 v105, v15, v110, -v6
	v_mul_f32_e32 v6, v4, v115
	s_delay_alu instid0(VALU_DEP_4)
	v_fma_f32 v106, v12, v112, -v7
	v_mul_f32_e32 v4, v3, v117
	v_mul_u32_u24_e32 v2, 0x6c, v2
	v_lshlrev_b32_e32 v7, 2, v44
	v_fma_f32 v41, v118, v114, -v6
	v_add_f32_e32 v6, v137, v138
	v_fma_f32 v44, v13, v116, -v4
	v_add_f32_e32 v4, v139, v140
	v_add3_u32 v108, 0, v2, v7
	v_add_f32_e32 v2, v8, v138
	v_fmac_f32_e32 v40, -0.5, v6
	v_dual_sub_f32 v6, v18, v5 :: v_dual_fmac_f32 v107, v3, v116
	ds_load_b32 v109, v83
	ds_load_b32 v110, v28
	;; [unrolled: 1-line block ×9, first 2 shown]
	global_wb scope:SCOPE_SE
	s_wait_dscnt 0x0
	s_barrier_signal -1
	v_fmamk_f32 v9, v6, 0xbf5db3d7, v40
	s_barrier_wait -1
	v_add_f32_e32 v7, v39, v139
	v_dual_fmac_f32 v39, -0.5, v4 :: v_dual_sub_f32 v4, v55, v51
	global_inv scope:SCOPE_SE
	ds_store_2addr_b32 v108, v2, v9 offset1:9
	v_and_b32_e32 v2, 0xffff, v45
	v_and_b32_e32 v3, 0xffff, v42
	v_fmac_f32_e32 v40, 0x3f5db3d7, v6
	v_fmamk_f32 v6, v4, 0xbf5db3d7, v39
	v_fmac_f32_e32 v39, 0x3f5db3d7, v4
	v_mul_u32_u24_e32 v2, 0x6c, v2
	v_lshlrev_b32_e32 v4, 2, v49
	v_mul_u32_u24_e32 v3, 0x6c, v3
	v_lshlrev_b32_e32 v8, 2, v46
	v_lshlrev_b32_e32 v10, 2, v134
	v_sub_f32_e32 v118, v137, v138
	v_add3_u32 v45, 0, v2, v4
	v_and_b32_e32 v4, 0xffff, v43
	v_add3_u32 v42, 0, v3, v8
	v_dual_add_f32 v3, v7, v140 :: v_dual_lshlrev_b32 v8, 2, v50
	v_add_f32_e32 v7, v58, v57
	s_delay_alu instid0(VALU_DEP_4) | instskip(SKIP_1) | instid1(VALU_DEP_2)
	v_mul_u32_u24_e32 v4, 0x6c, v4
	v_dual_add_f32 v55, v110, v55 :: v_dual_fmac_f32 v110, -0.5, v120
	v_add3_u32 v43, 0, v4, v8
	v_add_f32_e32 v4, v61, v60
	v_add_f32_e32 v8, v34, v61
	ds_store_b32 v108, v40 offset:72
	ds_store_2addr_b32 v42, v3, v6 offset1:9
	v_add_f32_e32 v3, v54, v52
	v_add_f32_e32 v6, v38, v54
	v_fmac_f32_e32 v34, -0.5, v4
	v_add_f32_e32 v4, v64, v65
	s_delay_alu instid0(VALU_DEP_4) | instskip(NEXT) | instid1(VALU_DEP_4)
	v_dual_fmac_f32 v38, -0.5, v3 :: v_dual_sub_f32 v3, v56, v53
	v_add_f32_e32 v2, v6, v52
	v_sub_f32_e32 v52, v54, v52
	s_delay_alu instid0(VALU_DEP_3)
	v_fmamk_f32 v6, v3, 0xbf5db3d7, v38
	v_dual_fmac_f32 v38, 0x3f5db3d7, v3 :: v_dual_add_f32 v3, v37, v58
	v_fmac_f32_e32 v37, -0.5, v7
	v_sub_f32_e32 v7, v59, v62
	ds_store_b32 v42, v39 offset:72
	ds_store_2addr_b32 v45, v2, v6 offset1:9
	ds_store_b32 v45, v38 offset:72
	v_add_f32_e32 v2, v3, v57
	v_mul_u32_u24_e32 v6, 0x6c, v47
	v_fmamk_f32 v3, v7, 0xbf5db3d7, v37
	ds_store_2addr_b32 v43, v2, v3 offset1:9
	v_dual_sub_f32 v3, v66, v63 :: v_dual_add_f32 v2, v8, v60
	v_add_f32_e32 v8, v35, v64
	v_fmac_f32_e32 v35, -0.5, v4
	v_add_f32_e32 v4, v99, v68
	s_delay_alu instid0(VALU_DEP_4) | instskip(SKIP_3) | instid1(VALU_DEP_1)
	v_fmamk_f32 v9, v3, 0xbf5db3d7, v34
	v_fmac_f32_e32 v34, 0x3f5db3d7, v3
	v_fmac_f32_e32 v37, 0x3f5db3d7, v7
	v_lshlrev_b32_e32 v7, 2, v130
	v_add3_u32 v46, 0, v6, v7
	v_mul_u32_u24_e32 v6, 0x6c, v48
	v_lshlrev_b32_e32 v7, 2, v131
	s_delay_alu instid0(VALU_DEP_1) | instskip(SKIP_4) | instid1(VALU_DEP_4)
	v_add3_u32 v47, 0, v6, v7
	v_dual_sub_f32 v6, v67, v98 :: v_dual_add_f32 v7, v33, v99
	v_add_f32_e32 v3, v8, v65
	v_mul_u32_u24_e32 v8, 0x6c, v69
	v_dual_fmac_f32 v33, -0.5, v4 :: v_dual_sub_f32 v4, v102, v101
	v_fmamk_f32 v11, v6, 0xbf5db3d7, v35
	v_fmac_f32_e32 v35, 0x3f5db3d7, v6
	s_delay_alu instid0(VALU_DEP_4) | instskip(NEXT) | instid1(VALU_DEP_4)
	v_add3_u32 v48, 0, v8, v10
	v_dual_add_f32 v6, v7, v68 :: v_dual_fmamk_f32 v7, v4, 0xbf5db3d7, v33
	ds_store_b32 v43, v37 offset:72
	ds_store_2addr_b32 v46, v2, v9 offset1:9
	ds_store_b32 v46, v34 offset:72
	ds_store_2addr_b32 v47, v3, v11 offset1:9
	;; [unrolled: 2-line block ×3, first 2 shown]
	v_add_f32_e32 v2, v100, v103
	v_mul_u32_u24_e32 v3, 0x6c, v132
	v_add_f32_e32 v6, v21, v100
	v_add_f32_e32 v7, v20, v104
	v_lshlrev_b32_e32 v9, 2, v136
	v_fmac_f32_e32 v21, -0.5, v2
	v_dual_sub_f32 v2, v105, v106 :: v_dual_fmac_f32 v33, 0x3f5db3d7, v4
	v_lshlrev_b32_e32 v4, 2, v135
	v_mul_u32_u24_e32 v8, 0x6c, v133
	s_delay_alu instid0(VALU_DEP_2)
	v_add3_u32 v49, 0, v3, v4
	v_add_f32_e32 v3, v6, v103
	v_add_f32_e32 v4, v104, v107
	v_fmamk_f32 v6, v2, 0xbf5db3d7, v21
	v_dual_fmac_f32 v21, 0x3f5db3d7, v2 :: v_dual_add_f32 v2, v7, v107
	v_add_f32_e32 v7, v18, v5
	ds_store_b32 v48, v33 offset:72
	v_fmac_f32_e32 v20, -0.5, v4
	v_sub_f32_e32 v4, v41, v44
	ds_store_2addr_b32 v49, v3, v6 offset1:9
	v_dual_add_f32 v6, v109, v18 :: v_dual_fmac_f32 v109, -0.5, v7
	v_add3_u32 v50, 0, v8, v9
	v_fmamk_f32 v3, v4, 0xbf5db3d7, v20
	v_fmac_f32_e32 v20, 0x3f5db3d7, v4
	ds_store_b32 v49, v21 offset:72
	v_fmamk_f32 v119, v118, 0x3f5db3d7, v109
	v_dual_fmac_f32 v109, 0xbf5db3d7, v118 :: v_dual_sub_f32 v118, v139, v140
	v_add_f32_e32 v69, v6, v5
	ds_store_2addr_b32 v50, v2, v3 offset1:9
	ds_store_b32 v50, v20 offset:72
	global_wb scope:SCOPE_SE
	s_wait_dscnt 0x0
	s_barrier_signal -1
	s_barrier_wait -1
	global_inv scope:SCOPE_SE
	ds_load_b32 v40, v83
	ds_load_b32 v39, v28
	;; [unrolled: 1-line block ×9, first 2 shown]
	ds_load_2addr_b32 v[18:19], v84 offset0:55 offset1:118
	ds_load_2addr_b32 v[4:5], v85 offset0:47 offset1:110
	;; [unrolled: 1-line block ×9, first 2 shown]
	global_wb scope:SCOPE_SE
	s_wait_dscnt 0x0
	s_barrier_signal -1
	s_barrier_wait -1
	global_inv scope:SCOPE_SE
	v_dual_add_f32 v51, v55, v51 :: v_dual_fmamk_f32 v54, v118, 0x3f5db3d7, v110
	v_fmac_f32_e32 v110, 0xbf5db3d7, v118
	ds_store_2addr_b32 v108, v69, v119 offset1:9
	v_dual_add_f32 v69, v56, v53 :: v_dual_add_f32 v56, v111, v56
	s_delay_alu instid0(VALU_DEP_1) | instskip(NEXT) | instid1(VALU_DEP_1)
	v_fmac_f32_e32 v111, -0.5, v69
	v_fmamk_f32 v55, v52, 0x3f5db3d7, v111
	v_dual_fmac_f32 v111, 0xbf5db3d7, v52 :: v_dual_add_f32 v52, v112, v59
	ds_store_b32 v108, v109 offset:72
	ds_store_2addr_b32 v42, v51, v54 offset1:9
	ds_store_b32 v42, v110 offset:72
	v_add_f32_e32 v42, v59, v62
	v_add_f32_e32 v52, v52, v62
	s_delay_alu instid0(VALU_DEP_2) | instskip(SKIP_2) | instid1(VALU_DEP_2)
	v_fmac_f32_e32 v112, -0.5, v42
	v_sub_f32_e32 v42, v58, v57
	v_dual_add_f32 v53, v56, v53 :: v_dual_add_f32 v56, v114, v67
	v_fmamk_f32 v54, v42, 0x3f5db3d7, v112
	v_fmac_f32_e32 v112, 0xbf5db3d7, v42
	ds_store_2addr_b32 v45, v53, v55 offset1:9
	v_add_f32_e32 v53, v113, v66
	v_add_f32_e32 v56, v56, v98
	s_delay_alu instid0(VALU_DEP_2) | instskip(NEXT) | instid1(VALU_DEP_1)
	v_dual_add_f32 v42, v53, v63 :: v_dual_add_f32 v53, v67, v98
	v_dual_add_f32 v51, v66, v63 :: v_dual_fmac_f32 v114, -0.5, v53
	s_delay_alu instid0(VALU_DEP_1) | instskip(SKIP_3) | instid1(VALU_DEP_3)
	v_fmac_f32_e32 v113, -0.5, v51
	v_sub_f32_e32 v53, v64, v65
	v_sub_f32_e32 v51, v61, v60
	v_dual_add_f32 v57, v115, v102 :: v_dual_add_f32 v60, v116, v105
	v_fmamk_f32 v58, v53, 0x3f5db3d7, v114
	v_fmac_f32_e32 v114, 0xbf5db3d7, v53
	s_delay_alu instid0(VALU_DEP_3) | instskip(SKIP_4) | instid1(VALU_DEP_4)
	v_add_f32_e32 v53, v57, v101
	v_add_f32_e32 v57, v105, v106
	v_fmamk_f32 v55, v51, 0x3f5db3d7, v113
	v_dual_fmac_f32 v113, 0xbf5db3d7, v51 :: v_dual_add_f32 v60, v60, v106
	v_add_f32_e32 v51, v102, v101
	v_dual_fmac_f32 v116, -0.5, v57 :: v_dual_sub_f32 v57, v100, v103
	ds_store_b32 v45, v111 offset:72
	ds_store_2addr_b32 v43, v52, v54 offset1:9
	ds_store_b32 v43, v112 offset:72
	ds_store_2addr_b32 v46, v42, v55 offset1:9
	v_fmac_f32_e32 v115, -0.5, v51
	v_sub_f32_e32 v51, v99, v68
	v_fmamk_f32 v61, v57, 0x3f5db3d7, v116
	v_fmac_f32_e32 v116, 0xbf5db3d7, v57
	s_delay_alu instid0(VALU_DEP_3)
	v_fmamk_f32 v59, v51, 0x3f5db3d7, v115
	v_fmac_f32_e32 v115, 0xbf5db3d7, v51
	v_add_f32_e32 v51, v41, v44
	v_add_f32_e32 v41, v117, v41
	ds_store_b32 v46, v113 offset:72
	ds_store_2addr_b32 v47, v56, v58 offset1:9
	ds_store_b32 v47, v114 offset:72
	ds_store_2addr_b32 v48, v53, v59 offset1:9
	v_mul_lo_u16 v46, v23, 19
	v_mul_u32_u24_e32 v47, 0x2f69, v24
	v_dual_fmac_f32 v117, -0.5, v51 :: v_dual_add_f32 v44, v41, v44
	v_lshrrev_b16 v41, 9, v30
	v_mul_lo_u16 v30, v31, 19
	v_sub_f32_e32 v51, v104, v107
	ds_store_b32 v48, v115 offset:72
	ds_store_2addr_b32 v49, v60, v61 offset1:9
	ds_store_b32 v49, v116 offset:72
	v_mul_u32_u24_e32 v24, 0x6523, v24
	v_mul_lo_u16 v42, v41, 27
	v_lshrrev_b16 v30, 9, v30
	v_fmamk_f32 v57, v51, 0x3f5db3d7, v117
	v_fmac_f32_e32 v117, 0xbf5db3d7, v51
	ds_store_2addr_b32 v50, v44, v57 offset1:9
	ds_store_b32 v50, v117 offset:72
	v_sub_nc_u16 v31, v70, v42
	v_mul_lo_u16 v43, v30, 27
	global_wb scope:SCOPE_SE
	s_wait_dscnt 0x0
	s_barrier_signal -1
	s_barrier_wait -1
	v_and_b32_e32 v42, 0xff, v31
	v_mul_lo_u16 v31, v22, 19
	v_sub_nc_u16 v43, v74, v43
	global_inv scope:SCOPE_SE
	v_mul_lo_u16 v22, 0xcb, v22
	v_lshlrev_b32_e32 v45, 4, v42
	v_lshrrev_b16 v31, 9, v31
	v_and_b32_e32 v44, 0xff, v43
	v_lshrrev_b16 v43, 9, v46
	v_lshrrev_b32_e32 v46, 16, v47
	v_mul_u32_u24_e32 v47, 0x2f69, v25
	v_mul_lo_u16 v48, v31, 27
	v_lshlrev_b32_e32 v49, 4, v44
	v_mul_lo_u16 v50, v43, 27
	v_sub_nc_u16 v59, v80, v46
	v_lshrrev_b32_e32 v60, 16, v47
	v_sub_nc_u16 v48, v75, v48
	s_clause 0x1
	global_load_b128 v[51:54], v45, s[4:5] offset:192
	global_load_b128 v[55:58], v49, s[4:5] offset:192
	v_sub_nc_u16 v47, v72, v50
	v_lshrrev_b16 v49, 1, v59
	v_mul_u32_u24_e32 v50, 0x2f69, v27
	v_and_b32_e32 v45, 0xff, v48
	v_sub_nc_u16 v48, v79, v60
	v_and_b32_e32 v47, 0xff, v47
	v_add_nc_u16 v46, v49, v46
	v_lshrrev_b32_e32 v67, 16, v50
	v_lshlrev_b32_e32 v49, 4, v45
	v_lshrrev_b16 v48, 1, v48
	v_lshlrev_b32_e32 v63, 4, v47
	v_lshrrev_b16 v50, 4, v46
	v_sub_nc_u16 v68, v78, v67
	v_mul_u32_u24_e32 v46, 0x2f69, v26
	v_add_nc_u16 v48, v48, v60
	s_clause 0x1
	global_load_b128 v[59:62], v49, s[4:5] offset:192
	global_load_b128 v[63:66], v63, s[4:5] offset:192
	v_mul_lo_u16 v49, v50, 27
	v_mul_u32_u24_e32 v27, 0x6523, v27
	v_lshrrev_b32_e32 v46, 16, v46
	v_lshrrev_b16 v127, 4, v48
	v_lshrrev_b16 v48, 1, v68
	v_sub_nc_u16 v49, v80, v49
	v_mul_u32_u24_e32 v68, 0x2f69, v29
	v_sub_nc_u16 v69, v77, v46
	v_mul_lo_u16 v98, v127, 27
	v_add_nc_u16 v48, v48, v67
	v_and_b32_e32 v128, 0xffff, v49
	v_lshrrev_b32_e32 v67, 16, v68
	v_lshrrev_b16 v68, 1, v69
	v_sub_nc_u16 v49, v79, v98
	v_lshrrev_b16 v129, 4, v48
	v_mul_u32_u24_e32 v26, 0x6523, v26
	v_sub_nc_u16 v48, v76, v67
	v_add_nc_u16 v46, v68, v46
	v_and_b32_e32 v130, 0xffff, v49
	v_mul_lo_u16 v49, v129, 27
	v_lshlrev_b32_e32 v68, 4, v128
	v_lshrrev_b16 v48, 1, v48
	v_lshrrev_b16 v131, 4, v46
	v_lshlrev_b32_e32 v46, 4, v130
	v_sub_nc_u16 v49, v78, v49
	global_load_b128 v[101:104], v68, s[4:5] offset:192
	v_add_nc_u16 v48, v48, v67
	v_mul_lo_u16 v67, v131, 27
	global_load_b128 v[105:108], v46, s[4:5] offset:192
	v_and_b32_e32 v133, 0xffff, v49
	v_mul_u32_u24_e32 v29, 0x6523, v29
	v_lshrrev_b16 v132, 4, v48
	s_delay_alu instid0(VALU_DEP_3) | instskip(NEXT) | instid1(VALU_DEP_2)
	v_lshlrev_b32_e32 v49, 4, v133
	v_mul_lo_u16 v48, v132, 27
	global_load_b128 v[109:112], v49, s[4:5] offset:192
	v_sub_nc_u16 v46, v77, v67
	s_delay_alu instid0(VALU_DEP_1) | instskip(SKIP_1) | instid1(VALU_DEP_2)
	v_and_b32_e32 v134, 0xffff, v46
	v_sub_nc_u16 v46, v76, v48
	v_lshlrev_b32_e32 v48, 4, v134
	s_delay_alu instid0(VALU_DEP_2)
	v_and_b32_e32 v135, 0xffff, v46
	global_load_b128 v[113:116], v48, s[4:5] offset:192
	v_lshlrev_b32_e32 v46, 4, v135
	global_load_b128 v[117:120], v46, s[4:5] offset:192
	ds_load_2addr_b32 v[48:49], v84 offset0:55 offset1:118
	ds_load_2addr_b32 v[121:122], v85 offset0:47 offset1:110
	ds_load_2addr_b32 v[123:124], v85 offset0:173 offset1:236
	ds_load_2addr_b32 v[125:126], v84 offset0:181 offset1:244
	s_wait_loadcnt 0x8
	v_mul_f32_e32 v46, v18, v52
	s_wait_dscnt 0x2
	v_dual_mul_f32 v136, v48, v52 :: v_dual_mul_f32 v137, v122, v54
	v_mul_f32_e32 v52, v5, v54
	s_wait_loadcnt 0x7
	v_mul_f32_e32 v54, v49, v56
	v_fma_f32 v138, v48, v51, -v46
	v_mul_f32_e32 v46, v19, v56
	v_dual_fmac_f32 v136, v18, v51 :: v_dual_fmac_f32 v137, v5, v53
	v_fma_f32 v5, v122, v53, -v52
	ds_load_2addr_b32 v[51:52], v87 offset0:51 offset1:114
	v_fma_f32 v98, v49, v55, -v46
	v_mul_f32_e32 v46, v16, v58
	v_fmac_f32_e32 v54, v19, v55
	ds_load_2addr_b32 v[18:19], v86 offset0:43 offset1:106
	s_wait_dscnt 0x3
	v_mul_f32_e32 v69, v123, v58
	s_wait_loadcnt 0x6
	v_mul_f32_e32 v48, v17, v62
	s_wait_dscnt 0x2
	v_mul_f32_e32 v139, v125, v60
	v_fma_f32 v100, v123, v57, -v46
	v_mul_f32_e32 v46, v14, v60
	s_wait_loadcnt 0x5
	v_mul_f32_e32 v49, v15, v64
	v_fma_f32 v99, v124, v61, -v48
	v_mul_f32_e32 v48, v126, v64
	v_fmac_f32_e32 v139, v14, v59
	v_fma_f32 v125, v125, v59, -v46
	v_mul_f32_e32 v46, v12, v66
	v_mul_f32_e32 v68, v124, v62
	v_fmac_f32_e32 v48, v15, v63
	ds_load_2addr_b32 v[14:15], v87 offset0:177 offset1:240
	v_fmac_f32_e32 v69, v16, v57
	v_fmac_f32_e32 v68, v17, v61
	ds_load_2addr_b32 v[16:17], v86 offset0:169 offset1:232
	s_wait_dscnt 0x2
	v_mul_f32_e32 v59, v18, v66
	v_fma_f32 v66, v18, v65, -v46
	s_wait_loadcnt 0x4
	v_mul_f32_e32 v67, v51, v102
	v_dual_mul_f32 v55, v19, v104 :: v_dual_mul_f32 v18, v10, v102
	s_wait_loadcnt 0x3
	s_delay_alu instid0(VALU_DEP_2) | instskip(NEXT) | instid1(VALU_DEP_2)
	v_dual_fmac_f32 v67, v10, v101 :: v_dual_mul_f32 v10, v11, v106
	v_fma_f32 v101, v51, v101, -v18
	v_mul_f32_e32 v18, v8, v108
	s_wait_dscnt 0x0
	v_mul_f32_e32 v53, v16, v108
	s_delay_alu instid0(VALU_DEP_2)
	v_fma_f32 v56, v16, v107, -v18
	s_wait_loadcnt 0x2
	v_mul_f32_e32 v64, v14, v110
	v_fma_f32 v61, v126, v63, -v49
	v_mul_f32_e32 v49, v13, v104
	v_fma_f32 v63, v52, v105, -v10
	v_mul_f32_e32 v10, v6, v110
	v_dual_fmac_f32 v64, v6, v109 :: v_dual_fmac_f32 v55, v13, v103
	s_delay_alu instid0(VALU_DEP_4)
	v_fma_f32 v62, v19, v103, -v49
	v_mul_f32_e32 v49, v52, v106
	v_mul_f32_e32 v57, v17, v112
	v_fma_f32 v102, v14, v109, -v10
	s_wait_loadcnt 0x1
	v_mul_f32_e32 v46, v15, v114
	v_mul_f32_e32 v6, v7, v114
	s_delay_alu instid0(VALU_DEP_2)
	v_fmac_f32_e32 v46, v7, v113
	v_fmac_f32_e32 v59, v12, v65
	ds_load_2addr_b32 v[12:13], v97 offset0:39 offset1:102
	v_fma_f32 v60, v15, v113, -v6
	s_wait_loadcnt 0x0
	v_dual_mul_f32 v6, v4, v118 :: v_dual_mul_f32 v7, v2, v116
	s_wait_dscnt 0x0
	v_dual_mul_f32 v51, v121, v118 :: v_dual_mul_f32 v52, v12, v116
	s_delay_alu instid0(VALU_DEP_2) | instskip(NEXT) | instid1(VALU_DEP_2)
	v_fma_f32 v58, v12, v115, -v7
	v_dual_fmac_f32 v52, v2, v115 :: v_dual_lshlrev_b32 v7, 2, v42
	v_and_b32_e32 v2, 0xffff, v41
	v_fma_f32 v41, v121, v117, -v6
	v_add_f32_e32 v6, v136, v137
	v_dual_fmac_f32 v53, v8, v107 :: v_dual_mul_f32 v8, v9, v112
	v_fmac_f32_e32 v49, v11, v105
	v_mul_u32_u24_e32 v2, 0x144, v2
	s_delay_alu instid0(VALU_DEP_3)
	v_fma_f32 v65, v17, v111, -v8
	v_add_f32_e32 v8, v40, v136
	v_fmac_f32_e32 v40, -0.5, v6
	v_add_f32_e32 v6, v54, v69
	v_dual_fmac_f32 v51, v4, v117 :: v_dual_mul_f32 v4, v3, v120
	v_mul_f32_e32 v103, v13, v120
	v_fmac_f32_e32 v57, v9, v111
	v_add3_u32 v104, 0, v2, v7
	v_add_f32_e32 v2, v8, v137
	v_fma_f32 v42, v13, v119, -v4
	v_dual_fmac_f32 v103, v3, v119 :: v_dual_and_b32 v4, 0xffff, v30
	v_sub_f32_e32 v3, v138, v5
	v_dual_add_f32 v7, v39, v54 :: v_dual_lshlrev_b32 v8, 2, v44
	s_delay_alu instid0(VALU_DEP_3)
	v_mul_u32_u24_e32 v4, 0x144, v4
	v_dual_fmac_f32 v39, -0.5, v6 :: v_dual_sub_f32 v6, v98, v100
	ds_load_b32 v105, v83
	ds_load_b32 v106, v28
	;; [unrolled: 1-line block ×9, first 2 shown]
	global_wb scope:SCOPE_SE
	s_wait_dscnt 0x0
	v_add3_u32 v44, 0, v4, v8
	s_barrier_signal -1
	v_fmamk_f32 v4, v6, 0xbf5db3d7, v39
	v_dual_fmac_f32 v39, 0x3f5db3d7, v6 :: v_dual_add_f32 v6, v38, v139
	v_fmamk_f32 v9, v3, 0xbf5db3d7, v40
	s_barrier_wait -1
	global_inv scope:SCOPE_SE
	v_lshlrev_b32_e32 v8, 2, v128
	ds_store_2addr_b32 v104, v2, v9 offset1:27
	v_and_b32_e32 v2, 0xffff, v31
	v_dual_fmac_f32 v40, 0x3f5db3d7, v3 :: v_dual_add_f32 v3, v7, v69
	ds_store_b32 v104, v40 offset:216
	ds_store_2addr_b32 v44, v3, v4 offset1:27
	v_add_f32_e32 v3, v139, v68
	v_mul_u32_u24_e32 v2, 0x144, v2
	v_lshlrev_b32_e32 v4, 2, v45
	v_lshlrev_b32_e32 v7, 2, v47
	s_delay_alu instid0(VALU_DEP_4) | instskip(SKIP_1) | instid1(VALU_DEP_4)
	v_dual_sub_f32 v47, v136, v137 :: v_dual_fmac_f32 v38, -0.5, v3
	v_sub_f32_e32 v3, v125, v99
	v_add3_u32 v31, 0, v2, v4
	v_and_b32_e32 v2, 0xffff, v43
	v_add_f32_e32 v4, v6, v68
	ds_store_b32 v44, v39 offset:216
	v_fmamk_f32 v6, v3, 0xbf5db3d7, v38
	v_fmac_f32_e32 v38, 0x3f5db3d7, v3
	v_add_f32_e32 v3, v48, v59
	v_mul_u32_u24_e32 v2, 0x144, v2
	ds_store_2addr_b32 v31, v4, v6 offset1:27
	v_dual_add_f32 v4, v37, v48 :: v_dual_fmac_f32 v37, -0.5, v3
	v_sub_f32_e32 v6, v61, v66
	ds_store_b32 v31, v38 offset:216
	v_add3_u32 v38, 0, v2, v7
	v_dual_add_f32 v3, v4, v59 :: v_dual_and_b32 v2, 0xffff, v50
	v_dual_add_f32 v4, v67, v55 :: v_dual_fmamk_f32 v9, v6, 0xbf5db3d7, v37
	v_add_f32_e32 v7, v35, v67
	s_delay_alu instid0(VALU_DEP_3) | instskip(SKIP_1) | instid1(VALU_DEP_4)
	v_mul_u32_u24_e32 v2, 0x144, v2
	v_fmac_f32_e32 v37, 0x3f5db3d7, v6
	v_dual_fmac_f32 v35, -0.5, v4 :: v_dual_sub_f32 v4, v101, v62
	s_delay_alu instid0(VALU_DEP_3) | instskip(SKIP_2) | instid1(VALU_DEP_4)
	v_add3_u32 v39, 0, v2, v8
	v_lshlrev_b32_e32 v8, 2, v133
	v_lshrrev_b32_e32 v133, 21, v26
	v_fmamk_f32 v6, v4, 0xbf5db3d7, v35
	v_add_f32_e32 v2, v7, v55
	v_and_b32_e32 v7, 0xffff, v127
	ds_store_2addr_b32 v38, v3, v9 offset1:27
	ds_store_b32 v38, v37 offset:216
	v_add_f32_e32 v3, v49, v53
	ds_store_2addr_b32 v39, v2, v6 offset1:27
	v_lshlrev_b32_e32 v6, 2, v130
	v_mul_u32_u24_e32 v2, 0x144, v7
	v_add_f32_e32 v7, v33, v49
	v_fmac_f32_e32 v33, -0.5, v3
	v_sub_f32_e32 v3, v63, v56
	s_delay_alu instid0(VALU_DEP_4) | instskip(SKIP_1) | instid1(VALU_DEP_3)
	v_add3_u32 v40, 0, v2, v6
	v_and_b32_e32 v2, 0xffff, v129
	v_fmamk_f32 v6, v3, 0xbf5db3d7, v33
	v_dual_fmac_f32 v35, 0x3f5db3d7, v4 :: v_dual_add_f32 v4, v7, v53
	v_add_f32_e32 v7, v64, v57
	s_delay_alu instid0(VALU_DEP_4)
	v_mul_u32_u24_e32 v2, 0x144, v2
	v_fmac_f32_e32 v33, 0x3f5db3d7, v3
	ds_store_b32 v39, v35 offset:216
	ds_store_2addr_b32 v40, v4, v6 offset1:27
	v_add_f32_e32 v4, v34, v64
	v_add3_u32 v35, 0, v2, v8
	v_and_b32_e32 v2, 0xffff, v131
	v_fmac_f32_e32 v34, -0.5, v7
	v_dual_sub_f32 v6, v102, v65 :: v_dual_add_f32 v7, v20, v46
	v_dual_add_f32 v3, v4, v57 :: v_dual_add_f32 v4, v46, v52
	s_delay_alu instid0(VALU_DEP_2) | instskip(SKIP_2) | instid1(VALU_DEP_4)
	v_dual_fmamk_f32 v9, v6, 0xbf5db3d7, v34 :: v_dual_lshlrev_b32 v8, 2, v134
	v_fmac_f32_e32 v34, 0x3f5db3d7, v6
	v_mul_u32_u24_e32 v2, 0x144, v2
	v_fmac_f32_e32 v20, -0.5, v4
	v_sub_f32_e32 v4, v60, v58
	ds_store_b32 v40, v33 offset:216
	ds_store_2addr_b32 v35, v3, v9 offset1:27
	ds_store_b32 v35, v34 offset:216
	v_add_f32_e32 v3, v51, v103
	v_add3_u32 v43, 0, v2, v8
	v_dual_add_f32 v2, v7, v52 :: v_dual_add_f32 v7, v21, v51
	v_dual_fmamk_f32 v6, v4, 0xbf5db3d7, v20 :: v_dual_add_f32 v9, v138, v5
	s_delay_alu instid0(VALU_DEP_4)
	v_fmac_f32_e32 v21, -0.5, v3
	v_dual_sub_f32 v3, v41, v42 :: v_dual_fmac_f32 v20, 0x3f5db3d7, v4
	ds_store_2addr_b32 v43, v2, v6 offset1:27
	v_add_f32_e32 v6, v105, v138
	v_dual_fmac_f32 v105, -0.5, v9 :: v_dual_lshlrev_b32 v8, 2, v135
	v_fmamk_f32 v4, v3, 0xbf5db3d7, v21
	v_fmac_f32_e32 v21, 0x3f5db3d7, v3
	s_delay_alu instid0(VALU_DEP_4) | instskip(NEXT) | instid1(VALU_DEP_4)
	v_dual_add_f32 v37, v6, v5 :: v_dual_and_b32 v2, 0xffff, v132
	v_fmamk_f32 v50, v47, 0x3f5db3d7, v105
	v_dual_add_f32 v114, v98, v100 :: v_dual_fmac_f32 v105, 0xbf5db3d7, v47
	s_delay_alu instid0(VALU_DEP_3) | instskip(SKIP_3) | instid1(VALU_DEP_4)
	v_mul_u32_u24_e32 v2, 0x144, v2
	v_add_f32_e32 v47, v106, v98
	v_sub_f32_e32 v46, v46, v52
	v_lshrrev_b32_e32 v131, 21, v27
	v_add3_u32 v45, 0, v2, v8
	v_add_f32_e32 v2, v7, v103
	ds_store_b32 v43, v20 offset:216
	ds_store_2addr_b32 v45, v2, v4 offset1:27
	ds_store_b32 v45, v21 offset:216
	global_wb scope:SCOPE_SE
	s_wait_dscnt 0x0
	s_barrier_signal -1
	s_barrier_wait -1
	global_inv scope:SCOPE_SE
	ds_load_2addr_b32 v[33:34], v84 offset0:55 offset1:118
	ds_load_2addr_b32 v[3:4], v85 offset0:47 offset1:110
	;; [unrolled: 1-line block ×8, first 2 shown]
	ds_load_b32 v30, v83
	ds_load_b32 v21, v28
	ds_load_b32 v20, v32
	ds_load_b32 v19, v91
	ds_load_b32 v18, v92
	ds_load_b32 v17, v94
	ds_load_b32 v16, v95
	ds_load_b32 v5, v96
	ds_load_2addr_b32 v[6:7], v97 offset0:39 offset1:102
	ds_load_b32 v2, v93
	global_wb scope:SCOPE_SE
	s_wait_dscnt 0x0
	s_barrier_signal -1
	s_barrier_wait -1
	global_inv scope:SCOPE_SE
	ds_store_2addr_b32 v104, v37, v50 offset1:27
	v_dual_add_f32 v37, v125, v99 :: v_dual_fmac_f32 v106, -0.5, v114
	v_sub_f32_e32 v50, v54, v69
	v_add_f32_e32 v54, v107, v125
	v_lshrrev_b16 v125, 14, v22
	s_delay_alu instid0(VALU_DEP_4) | instskip(SKIP_4) | instid1(VALU_DEP_4)
	v_fmac_f32_e32 v107, -0.5, v37
	v_sub_f32_e32 v37, v139, v68
	v_dual_add_f32 v47, v47, v100 :: v_dual_fmamk_f32 v68, v50, 0x3f5db3d7, v106
	v_fmac_f32_e32 v106, 0xbf5db3d7, v50
	v_add_f32_e32 v50, v54, v99
	v_fmamk_f32 v54, v37, 0x3f5db3d7, v107
	v_fmac_f32_e32 v107, 0xbf5db3d7, v37
	ds_store_b32 v104, v105 offset:216
	ds_store_2addr_b32 v44, v47, v68 offset1:27
	ds_store_b32 v44, v106 offset:216
	v_add_f32_e32 v37, v101, v62
	v_dual_add_f32 v44, v61, v66 :: v_dual_add_f32 v47, v108, v61
	s_delay_alu instid0(VALU_DEP_1)
	v_dual_fmac_f32 v108, -0.5, v44 :: v_dual_add_f32 v47, v47, v66
	v_sub_f32_e32 v44, v48, v59
	v_add_f32_e32 v48, v109, v101
	v_fmac_f32_e32 v109, -0.5, v37
	v_sub_f32_e32 v37, v67, v55
	ds_store_2addr_b32 v31, v50, v54 offset1:27
	v_dual_add_f32 v55, v110, v63 :: v_dual_fmamk_f32 v54, v37, 0x3f5db3d7, v109
	v_fmac_f32_e32 v109, 0xbf5db3d7, v37
	v_dual_fmamk_f32 v50, v44, 0x3f5db3d7, v108 :: v_dual_add_f32 v37, v102, v65
	v_fmac_f32_e32 v108, 0xbf5db3d7, v44
	v_add_f32_e32 v44, v48, v62
	v_add_f32_e32 v48, v63, v56
	s_delay_alu instid0(VALU_DEP_1)
	v_fmac_f32_e32 v110, -0.5, v48
	v_dual_sub_f32 v48, v49, v53 :: v_dual_add_f32 v49, v111, v102
	v_fmac_f32_e32 v111, -0.5, v37
	v_sub_f32_e32 v37, v64, v57
	v_add_f32_e32 v57, v112, v60
	v_add_f32_e32 v53, v55, v56
	v_fmamk_f32 v55, v48, 0x3f5db3d7, v110
	v_fmac_f32_e32 v110, 0xbf5db3d7, v48
	v_dual_add_f32 v48, v49, v65 :: v_dual_add_f32 v49, v60, v58
	ds_store_b32 v31, v107 offset:216
	ds_store_2addr_b32 v38, v47, v50 offset1:27
	ds_store_b32 v38, v108 offset:216
	ds_store_2addr_b32 v39, v44, v54 offset1:27
	ds_store_b32 v39, v109 offset:216
	v_mov_b32_e32 v38, 0
	v_subrev_nc_u32_e32 v31, 18, v70
	v_dual_fmac_f32 v112, -0.5, v49 :: v_dual_add_f32 v49, v57, v58
	v_fmamk_f32 v56, v37, 0x3f5db3d7, v111
	v_fmac_f32_e32 v111, 0xbf5db3d7, v37
	v_add_f32_e32 v37, v41, v42
	v_add_f32_e32 v41, v113, v41
	s_wait_alu 0xf1ff
	v_cndmask_b32_e64 v31, v31, v74, s0
	s_delay_alu instid0(VALU_DEP_3)
	v_fmac_f32_e32 v113, -0.5, v37
	v_sub_f32_e32 v37, v51, v103
	v_fmamk_f32 v51, v46, 0x3f5db3d7, v112
	v_fmac_f32_e32 v112, 0xbf5db3d7, v46
	v_add_f32_e32 v41, v41, v42
	ds_store_2addr_b32 v40, v53, v55 offset1:27
	ds_store_b32 v40, v110 offset:216
	ds_store_2addr_b32 v35, v48, v56 offset1:27
	ds_store_b32 v35, v111 offset:216
	v_fmamk_f32 v42, v37, 0x3f5db3d7, v113
	v_fmac_f32_e32 v113, 0xbf5db3d7, v37
	v_lshlrev_b32_e32 v37, 1, v70
	ds_store_2addr_b32 v43, v49, v51 offset1:27
	ds_store_b32 v43, v112 offset:216
	ds_store_2addr_b32 v45, v41, v42 offset1:27
	ds_store_b32 v45, v113 offset:216
	v_mul_lo_u16 v41, 0xcb, v23
	v_mul_lo_u16 v35, 0x51, v125
	v_lshlrev_b64_e32 v[39:40], 3, v[37:38]
	v_lshlrev_b32_e32 v37, 1, v31
	global_wb scope:SCOPE_SE
	s_wait_dscnt 0x0
	s_barrier_signal -1
	s_barrier_wait -1
	global_inv scope:SCOPE_SE
	v_lshlrev_b64_e32 v[22:23], 3, v[37:38]
	v_add_co_u32 v39, s0, s4, v39
	s_wait_alu 0xf1ff
	v_add_co_ci_u32_e64 v40, s0, s5, v40, s0
	v_sub_nc_u16 v35, v75, v35
	s_delay_alu instid0(VALU_DEP_4)
	v_add_co_u32 v22, s0, s4, v22
	s_wait_alu 0xf1ff
	v_add_co_ci_u32_e64 v23, s0, s5, v23, s0
	v_lshrrev_b16 v126, 14, v41
	global_load_b128 v[37:40], v[39:40], off offset:624
	v_and_b32_e32 v127, 0xff, v35
	global_load_b128 v[41:44], v[22:23], off offset:624
	v_lshrrev_b32_e32 v22, 21, v24
	v_mul_lo_u16 v45, 0x51, v126
	v_mul_u32_u24_e32 v24, 0x6523, v25
	v_lshlrev_b32_e32 v25, 4, v127
	v_cmp_lt_u32_e64 s0, 17, v70
	v_mul_lo_u16 v35, 0x51, v22
	v_sub_nc_u16 v23, v72, v45
	v_lshrrev_b32_e32 v129, 21, v24
	s_delay_alu instid0(VALU_DEP_3) | instskip(NEXT) | instid1(VALU_DEP_3)
	v_sub_nc_u16 v35, v80, v35
	v_and_b32_e32 v128, 0xff, v23
	global_load_b128 v[22:25], v25, s[4:5] offset:624
	v_mul_lo_u16 v46, 0x51, v129
	v_and_b32_e32 v130, 0xffff, v35
	v_lshlrev_b32_e32 v45, 4, v128
	s_delay_alu instid0(VALU_DEP_3) | instskip(NEXT) | instid1(VALU_DEP_3)
	v_sub_nc_u16 v27, v79, v46
	v_lshlrev_b32_e32 v35, 4, v130
	global_load_b128 v[51:54], v45, s[4:5] offset:624
	v_and_b32_e32 v132, 0xffff, v27
	global_load_b128 v[101:104], v35, s[4:5] offset:624
	v_mul_lo_u16 v45, 0x51, v131
	v_mul_lo_u16 v35, 0x51, v133
	v_lshlrev_b32_e32 v27, 4, v132
	s_delay_alu instid0(VALU_DEP_3) | instskip(SKIP_3) | instid1(VALU_DEP_2)
	v_sub_nc_u16 v26, v78, v45
	global_load_b128 v[105:108], v27, s[4:5] offset:624
	v_and_b32_e32 v134, 0xffff, v26
	v_lshrrev_b32_e32 v26, 21, v29
	v_lshlrev_b32_e32 v29, 4, v134
	s_delay_alu instid0(VALU_DEP_2) | instskip(SKIP_3) | instid1(VALU_DEP_2)
	v_mul_lo_u16 v26, 0x51, v26
	global_load_b128 v[109:112], v29, s[4:5] offset:624
	v_sub_nc_u16 v26, v76, v26
	v_sub_nc_u16 v27, v77, v35
	v_and_b32_e32 v29, 0xffff, v26
	s_delay_alu instid0(VALU_DEP_1) | instskip(SKIP_2) | instid1(VALU_DEP_1)
	v_lshlrev_b32_e32 v26, 4, v29
	global_load_b128 v[117:120], v26, s[4:5] offset:624
	v_and_b32_e32 v135, 0xffff, v27
	v_lshlrev_b32_e32 v27, 4, v135
	global_load_b128 v[113:116], v27, s[4:5] offset:624
	ds_load_2addr_b32 v[26:27], v84 offset0:55 offset1:118
	ds_load_2addr_b32 v[46:47], v85 offset0:47 offset1:110
	;; [unrolled: 1-line block ×4, first 2 shown]
	s_wait_loadcnt_dscnt 0x803
	v_mul_f32_e32 v76, v26, v38
	v_mul_f32_e32 v35, v33, v38
	s_wait_dscnt 0x2
	v_mul_f32_e32 v77, v47, v40
	v_mul_f32_e32 v40, v4, v40
	s_wait_loadcnt 0x7
	v_mul_f32_e32 v50, v27, v42
	v_fmac_f32_e32 v76, v33, v37
	v_fma_f32 v100, v26, v37, -v35
	v_dual_fmac_f32 v77, v4, v39 :: v_dual_mul_f32 v4, v34, v42
	ds_load_2addr_b32 v[37:38], v86 offset0:43 offset1:106
	v_fma_f32 v63, v47, v39, -v40
	v_fmac_f32_e32 v50, v34, v41
	ds_load_2addr_b32 v[33:34], v87 offset0:177 offset1:240
	v_fma_f32 v98, v27, v41, -v4
	v_mul_f32_e32 v4, v121, v44
	s_wait_loadcnt_dscnt 0x602
	v_dual_mul_f32 v61, v49, v25 :: v_dual_mul_f32 v62, v55, v23
	v_mul_f32_e32 v27, v122, v25
	ds_load_2addr_b32 v[25:26], v87 offset0:51 offset1:114
	v_fma_f32 v78, v48, v43, -v4
	v_mul_f32_e32 v23, v123, v23
	v_dual_fmac_f32 v61, v122, v24 :: v_dual_fmac_f32 v62, v123, v22
	v_mul_f32_e32 v60, v48, v44
	s_wait_loadcnt 0x5
	v_mul_f32_e32 v4, v124, v52
	v_mul_f32_e32 v47, v56, v52
	v_fma_f32 v99, v55, v22, -v23
	ds_load_2addr_b32 v[22:23], v86 offset0:169 offset1:232
	v_fmac_f32_e32 v60, v121, v43
	s_wait_dscnt 0x3
	v_mul_f32_e32 v58, v37, v54
	v_fma_f32 v79, v56, v51, -v4
	s_wait_loadcnt 0x4
	v_mul_f32_e32 v59, v38, v104
	v_mul_f32_e32 v4, v15, v104
	v_fma_f32 v69, v49, v24, -v27
	v_dual_mul_f32 v24, v14, v54 :: v_dual_fmac_f32 v47, v124, v51
	v_fmac_f32_e32 v58, v14, v53
	s_wait_dscnt 0x1
	v_dual_mul_f32 v65, v25, v102 :: v_dual_add_nc_u32 v104, 0x400, v83
	v_fma_f32 v67, v38, v103, -v4
	s_wait_loadcnt 0x3
	v_dual_mul_f32 v4, v13, v106 :: v_dual_fmac_f32 v59, v15, v103
	v_mul_f32_e32 v42, v26, v106
	ds_load_2addr_b32 v[14:15], v97 offset0:39 offset1:102
	v_fma_f32 v64, v37, v53, -v24
	v_fma_f32 v68, v26, v105, -v4
	v_mul_f32_e32 v24, v12, v102
	s_wait_dscnt 0x1
	v_dual_fmac_f32 v65, v12, v101 :: v_dual_mul_f32 v48, v22, v108
	s_wait_loadcnt 0x2
	v_dual_mul_f32 v4, v11, v112 :: v_dual_mul_f32 v53, v33, v110
	v_dual_fmac_f32 v42, v13, v105 :: v_dual_mul_f32 v45, v23, v112
	v_mul_f32_e32 v12, v10, v108
	s_delay_alu instid0(VALU_DEP_3)
	v_fma_f32 v49, v23, v111, -v4
	v_mul_f32_e32 v4, v8, v110
	v_dual_fmac_f32 v48, v10, v107 :: v_dual_fmac_f32 v53, v8, v109
	v_fmac_f32_e32 v45, v11, v111
	v_fma_f32 v57, v22, v107, -v12
	v_add_f32_e32 v11, v21, v50
	s_wait_alu 0xf1ff
	v_cndmask_b32_e64 v22, 0, 0x3cc, s0
	v_add_f32_e32 v23, v42, v48
	v_fma_f32 v80, v25, v101, -v24
	v_lshlrev_b32_e32 v24, 2, v128
	s_wait_loadcnt_dscnt 0x100
	v_mul_f32_e32 v43, v15, v120
	v_mul_f32_e32 v8, v3, v118
	v_add_f32_e32 v11, v11, v60
	v_lshl_add_u32 v97, v29, 2, 0
	v_add_nc_u32_e32 v103, 0x600, v83
	v_fmac_f32_e32 v43, v7, v119
	v_add_nc_u32_e32 v105, 0xe00, v83
	v_add_nc_u32_e32 v106, 0x1200, v83
	v_cmp_gt_u32_e64 s0, 54, v70
	s_wait_loadcnt 0x0
	v_mul_f32_e32 v13, v14, v116
	v_mul_f32_e32 v12, v34, v114
	;; [unrolled: 1-line block ×3, first 2 shown]
	v_fma_f32 v66, v33, v109, -v4
	v_mul_f32_e32 v4, v6, v116
	v_fmac_f32_e32 v13, v6, v115
	v_mul_f32_e32 v6, v46, v118
	v_fma_f32 v39, v34, v113, -v10
	v_sub_f32_e32 v10, v100, v63
	v_fma_f32 v44, v14, v115, -v4
	v_add_f32_e32 v4, v30, v76
	v_fmac_f32_e32 v6, v3, v117
	v_add_f32_e32 v3, v76, v77
	v_dual_fmac_f32 v12, v9, v113 :: v_dual_mul_f32 v9, v7, v120
	v_add_f32_e32 v14, v62, v61
	s_delay_alu instid0(VALU_DEP_3) | instskip(SKIP_1) | instid1(VALU_DEP_4)
	v_dual_fmac_f32 v30, -0.5, v3 :: v_dual_add_f32 v3, v50, v60
	v_fma_f32 v51, v46, v117, -v8
	v_fma_f32 v46, v15, v119, -v9
	ds_load_b32 v41, v83
	ds_load_b32 v40, v28
	;; [unrolled: 1-line block ×9, first 2 shown]
	v_dual_fmac_f32 v21, -0.5, v3 :: v_dual_add_f32 v4, v4, v77
	v_fmamk_f32 v3, v10, 0xbf5db3d7, v30
	global_wb scope:SCOPE_SE
	s_wait_dscnt 0x0
	s_barrier_signal -1
	s_barrier_wait -1
	global_inv scope:SCOPE_SE
	ds_store_2addr_b32 v83, v4, v3 offset1:81
	v_sub_f32_e32 v3, v98, v78
	v_dual_add_f32 v4, v20, v62 :: v_dual_lshlrev_b32 v15, 2, v31
	v_fmac_f32_e32 v20, -0.5, v14
	v_sub_f32_e32 v14, v99, v69
	v_fmac_f32_e32 v30, 0x3f5db3d7, v10
	v_fmamk_f32 v10, v3, 0xbf5db3d7, v21
	v_add3_u32 v91, 0, v22, v15
	v_fmac_f32_e32 v21, 0x3f5db3d7, v3
	v_and_b32_e32 v15, 0xffff, v125
	ds_store_b32 v83, v30 offset:648
	v_add_f32_e32 v22, v18, v65
	ds_store_2addr_b32 v91, v11, v10 offset1:81
	v_add_f32_e32 v11, v65, v59
	v_fmamk_f32 v3, v14, 0xbf5db3d7, v20
	v_fmac_f32_e32 v20, 0x3f5db3d7, v14
	v_add_f32_e32 v14, v47, v58
	v_add_f32_e32 v10, v19, v47
	v_dual_fmac_f32 v18, -0.5, v11 :: v_dual_sub_f32 v11, v79, v64
	ds_store_b32 v91, v21 offset:648
	v_fmac_f32_e32 v19, -0.5, v14
	v_mul_u32_u24_e32 v14, 0x3cc, v15
	v_dual_add_f32 v4, v4, v61 :: v_dual_lshlrev_b32 v15, 2, v127
	v_dual_add_f32 v10, v10, v58 :: v_dual_add_f32 v25, v12, v13
	v_lshl_add_u32 v94, v130, 2, 0
	s_delay_alu instid0(VALU_DEP_3)
	v_add3_u32 v92, 0, v14, v15
	v_dual_add_f32 v14, v17, v42 :: v_dual_sub_f32 v15, v80, v67
	v_fmac_f32_e32 v17, -0.5, v23
	v_add_f32_e32 v23, v53, v45
	ds_store_2addr_b32 v92, v4, v3 offset1:81
	v_dual_sub_f32 v3, v68, v57 :: v_dual_fmamk_f32 v4, v11, 0xbf5db3d7, v19
	v_fmac_f32_e32 v19, 0x3f5db3d7, v11
	v_and_b32_e32 v11, 0xffff, v126
	v_fmamk_f32 v21, v15, 0xbf5db3d7, v18
	v_fmac_f32_e32 v18, 0x3f5db3d7, v15
	v_fmamk_f32 v15, v3, 0xbf5db3d7, v17
	v_fmac_f32_e32 v17, 0x3f5db3d7, v3
	v_dual_add_f32 v3, v16, v53 :: v_dual_fmac_f32 v16, -0.5, v23
	v_mul_u32_u24_e32 v11, 0x3cc, v11
	v_dual_add_f32 v22, v22, v59 :: v_dual_add_nc_u32 v95, 0xa00, v94
	s_delay_alu instid0(VALU_DEP_3) | instskip(NEXT) | instid1(VALU_DEP_3)
	v_dual_add_f32 v14, v14, v48 :: v_dual_add_f32 v3, v3, v45
	v_add3_u32 v93, 0, v11, v24
	ds_store_b32 v92, v20 offset:648
	ds_store_2addr_b32 v93, v10, v4 offset1:81
	v_add_f32_e32 v4, v6, v43
	v_sub_f32_e32 v11, v66, v49
	v_add_f32_e32 v23, v5, v12
	v_dual_fmac_f32 v5, -0.5, v25 :: v_dual_sub_f32 v10, v39, v44
	v_sub_f32_e32 v24, v51, v46
	s_delay_alu instid0(VALU_DEP_4)
	v_fmamk_f32 v20, v11, 0xbf5db3d7, v16
	v_fmac_f32_e32 v16, 0x3f5db3d7, v11
	v_dual_add_f32 v52, v23, v13 :: v_dual_lshlrev_b32 v23, 2, v135
	v_dual_add_f32 v11, v2, v6 :: v_dual_fmac_f32 v2, -0.5, v4
	v_fmamk_f32 v4, v10, 0xbf5db3d7, v5
	v_fmac_f32_e32 v5, 0x3f5db3d7, v10
	ds_store_b32 v93, v19 offset:648
	v_dual_add_f32 v10, v11, v43 :: v_dual_fmamk_f32 v11, v24, 0xbf5db3d7, v2
	v_fmac_f32_e32 v2, 0x3f5db3d7, v24
	v_mul_u32_u24_e32 v19, 0x3cc, v129
	v_lshlrev_b32_e32 v24, 2, v132
	ds_store_2addr_b32 v95, v22, v21 offset0:89 offset1:170
	v_lshlrev_b32_e32 v21, 2, v134
	v_mul_u32_u24_e32 v22, 0x3cc, v133
	ds_store_b32 v94, v18 offset:3564
	v_add3_u32 v96, 0, v19, v24
	v_mul_u32_u24_e32 v19, 0x3cc, v131
	v_add3_u32 v102, 0, v22, v23
	ds_store_b32 v96, v17 offset:648
	v_add3_u32 v101, 0, v19, v21
	v_add_nc_u32_e32 v17, 0x1600, v97
	ds_store_2addr_b32 v96, v14, v15 offset1:81
	ds_store_2addr_b32 v101, v3, v20 offset1:81
	ds_store_b32 v101, v16 offset:648
	ds_store_2addr_b32 v102, v52, v4 offset1:81
	ds_store_b32 v102, v5 offset:648
	ds_store_2addr_b32 v17, v10, v11 offset0:50 offset1:131
	ds_store_b32 v97, v2 offset:6480
	global_wb scope:SCOPE_SE
	s_wait_dscnt 0x0
	s_barrier_signal -1
	s_barrier_wait -1
	global_inv scope:SCOPE_SE
	ds_load_2addr_b32 v[14:15], v83 offset1:243
	ds_load_2addr_b32 v[18:19], v103 offset0:102 offset1:165
	ds_load_2addr_b32 v[30:31], v84 offset0:100 offset1:217
	;; [unrolled: 1-line block ×3, first 2 shown]
	ds_load_b32 v55, v32
	ds_load_b32 v54, v28
	ds_load_b32 v56, v83 offset:6336
	ds_load_2addr_b32 v[32:33], v85 offset0:74 offset1:191
	ds_load_2addr_b32 v[26:27], v86 offset0:178 offset1:241
	;; [unrolled: 1-line block ×5, first 2 shown]
	v_sub_nc_u32_e32 v3, 0, v90
	v_sub_nc_u32_e32 v90, 0, v36
	s_delay_alu instid0(VALU_DEP_2)
	v_add_nc_u32_e32 v16, v88, v3
	s_and_saveexec_b32 s1, s0
	s_cbranch_execz .LBB0_15
; %bb.14:
	v_add_nc_u32_e32 v2, 0x6c0, v83
	v_add_nc_u32_e32 v3, 0xe40, v83
	;; [unrolled: 1-line block ×3, first 2 shown]
	ds_load_b32 v52, v16
	ds_load_2addr_b32 v[4:5], v2 offset1:243
	ds_load_2addr_b32 v[10:11], v3 offset0:6 offset1:249
	ds_load_2addr_b32 v[2:3], v36 offset0:12 offset1:255
.LBB0_15:
	s_wait_alu 0xfffe
	s_or_b32 exec_lo, exec_lo, s1
	v_add_f32_e32 v36, v100, v63
	v_sub_f32_e32 v76, v76, v77
	v_dual_add_f32 v88, v41, v100 :: v_dual_add_f32 v77, v98, v78
	global_wb scope:SCOPE_SE
	s_wait_dscnt 0x0
	v_dual_fmac_f32 v41, -0.5, v36 :: v_dual_add_f32 v36, v40, v98
	s_barrier_signal -1
	v_fmac_f32_e32 v40, -0.5, v77
	s_barrier_wait -1
	s_delay_alu instid0(VALU_DEP_2)
	v_dual_fmamk_f32 v77, v76, 0x3f5db3d7, v41 :: v_dual_add_f32 v98, v99, v69
	v_add_f32_e32 v63, v88, v63
	v_dual_fmac_f32 v41, 0xbf5db3d7, v76 :: v_dual_add_f32 v36, v36, v78
	v_sub_f32_e32 v61, v62, v61
	v_sub_f32_e32 v50, v50, v60
	v_dual_add_f32 v60, v38, v99 :: v_dual_sub_f32 v47, v47, v58
	v_add_f32_e32 v76, v37, v79
	v_sub_f32_e32 v59, v65, v59
	v_add_f32_e32 v65, v34, v68
	v_fmamk_f32 v62, v50, 0x3f5db3d7, v40
	v_fmac_f32_e32 v40, 0xbf5db3d7, v50
	v_add_f32_e32 v50, v60, v69
	v_add_f32_e32 v60, v79, v64
	v_fmac_f32_e32 v38, -0.5, v98
	global_inv scope:SCOPE_SE
	v_dual_sub_f32 v45, v53, v45 :: v_dual_sub_f32 v42, v42, v48
	v_fmac_f32_e32 v37, -0.5, v60
	v_dual_fmamk_f32 v69, v61, 0x3f5db3d7, v38 :: v_dual_add_f32 v60, v35, v80
	v_dual_fmac_f32 v38, 0xbf5db3d7, v61 :: v_dual_add_f32 v61, v80, v67
	v_add_f32_e32 v48, v65, v57
	v_sub_f32_e32 v12, v12, v13
	v_add_f32_e32 v13, v8, v51
	v_sub_f32_e32 v43, v6, v43
	v_dual_fmac_f32 v35, -0.5, v61 :: v_dual_add_f32 v58, v76, v64
	v_fmamk_f32 v61, v47, 0x3f5db3d7, v37
	v_fmac_f32_e32 v37, 0xbf5db3d7, v47
	s_delay_alu instid0(VALU_DEP_3) | instskip(SKIP_4) | instid1(VALU_DEP_1)
	v_fmamk_f32 v64, v59, 0x3f5db3d7, v35
	v_fmac_f32_e32 v35, 0xbf5db3d7, v59
	v_add_f32_e32 v59, v66, v49
	v_add_f32_e32 v47, v60, v67
	v_dual_add_f32 v60, v68, v57 :: v_dual_add_f32 v57, v9, v66
	v_dual_fmac_f32 v9, -0.5, v59 :: v_dual_fmac_f32 v34, -0.5, v60
	s_delay_alu instid0(VALU_DEP_1) | instskip(SKIP_1) | instid1(VALU_DEP_4)
	v_fmamk_f32 v59, v42, 0x3f5db3d7, v34
	v_fmac_f32_e32 v34, 0xbf5db3d7, v42
	v_dual_add_f32 v42, v57, v49 :: v_dual_add_f32 v49, v39, v44
	s_delay_alu instid0(VALU_DEP_4) | instskip(SKIP_2) | instid1(VALU_DEP_1)
	v_fmamk_f32 v57, v45, 0x3f5db3d7, v9
	v_fmac_f32_e32 v9, 0xbf5db3d7, v45
	v_add_f32_e32 v45, v51, v46
	v_dual_add_f32 v39, v7, v39 :: v_dual_fmac_f32 v8, -0.5, v45
	v_fmac_f32_e32 v7, -0.5, v49
	s_delay_alu instid0(VALU_DEP_1) | instskip(SKIP_1) | instid1(VALU_DEP_4)
	v_dual_add_f32 v53, v39, v44 :: v_dual_fmamk_f32 v6, v12, 0x3f5db3d7, v7
	v_dual_fmac_f32 v7, 0xbf5db3d7, v12 :: v_dual_add_f32 v12, v13, v46
	v_fmamk_f32 v13, v43, 0x3f5db3d7, v8
	v_fmac_f32_e32 v8, 0xbf5db3d7, v43
	ds_store_2addr_b32 v83, v63, v77 offset1:81
	ds_store_b32 v83, v41 offset:648
	ds_store_2addr_b32 v91, v36, v62 offset1:81
	ds_store_b32 v91, v40 offset:648
	;; [unrolled: 2-line block ×4, first 2 shown]
	ds_store_2addr_b32 v95, v47, v64 offset0:89 offset1:170
	ds_store_b32 v94, v35 offset:3564
	ds_store_2addr_b32 v96, v48, v59 offset1:81
	ds_store_b32 v96, v34 offset:648
	ds_store_2addr_b32 v101, v42, v57 offset1:81
	;; [unrolled: 2-line block ×3, first 2 shown]
	ds_store_b32 v102, v7 offset:648
	ds_store_2addr_b32 v17, v12, v13 offset0:50 offset1:131
	ds_store_b32 v97, v8 offset:6480
	v_add_nc_u32_e32 v9, v82, v89
	v_add_nc_u32_e32 v17, v81, v90
	global_wb scope:SCOPE_SE
	s_wait_dscnt 0x0
	s_barrier_signal -1
	s_barrier_wait -1
	global_inv scope:SCOPE_SE
	ds_load_2addr_b32 v[34:35], v83 offset1:243
	ds_load_2addr_b32 v[36:37], v103 offset0:102 offset1:165
	ds_load_2addr_b32 v[48:49], v84 offset0:100 offset1:217
	;; [unrolled: 1-line block ×8, first 2 shown]
	ds_load_b32 v58, v9
	ds_load_b32 v57, v17
	ds_load_b32 v59, v83 offset:6336
	s_and_saveexec_b32 s1, s0
	s_cbranch_execz .LBB0_17
; %bb.16:
	v_add_nc_u32_e32 v6, 0x6c0, v83
	v_add_nc_u32_e32 v8, 0xe40, v83
	;; [unrolled: 1-line block ×3, first 2 shown]
	ds_load_b32 v53, v16
	ds_load_2addr_b32 v[6:7], v6 offset1:243
	ds_load_2addr_b32 v[12:13], v8 offset0:6 offset1:249
	ds_load_2addr_b32 v[8:9], v9 offset0:12 offset1:255
.LBB0_17:
	s_wait_alu 0xfffe
	s_or_b32 exec_lo, exec_lo, s1
	s_and_saveexec_b32 s1, vcc_lo
	s_cbranch_execz .LBB0_20
; %bb.18:
	v_mul_u32_u24_e32 v16, 6, v70
	v_mov_b32_e32 v17, 0
	v_add_nc_u32_e32 v111, 0x2d9, v70
	v_add_nc_u32_e32 v112, 0x3cc, v70
	s_delay_alu instid0(VALU_DEP_4)
	v_lshlrev_b32_e32 v16, 3, v16
	s_clause 0x2
	global_load_b128 v[60:63], v16, s[4:5] offset:1920
	global_load_b128 v[64:67], v16, s[4:5] offset:1952
	;; [unrolled: 1-line block ×3, first 2 shown]
	v_mul_i32_i24_e32 v16, 6, v75
	s_delay_alu instid0(VALU_DEP_1) | instskip(SKIP_1) | instid1(VALU_DEP_2)
	v_lshlrev_b64_e32 v[68:69], 3, v[16:17]
	v_mul_i32_i24_e32 v16, 6, v74
	v_add_co_u32 v68, vcc_lo, s4, v68
	s_wait_alu 0xfffd
	s_delay_alu instid0(VALU_DEP_3)
	v_add_co_ci_u32_e32 v69, vcc_lo, s5, v69, vcc_lo
	s_clause 0x2
	global_load_b128 v[80:83], v[68:69], off offset:1920
	global_load_b128 v[84:87], v[68:69], off offset:1952
	;; [unrolled: 1-line block ×3, first 2 shown]
	v_lshlrev_b64_e32 v[68:69], 3, v[16:17]
	s_delay_alu instid0(VALU_DEP_1) | instskip(SKIP_1) | instid1(VALU_DEP_2)
	v_add_co_u32 v68, vcc_lo, s4, v68
	s_wait_alu 0xfffd
	v_add_co_ci_u32_e32 v69, vcc_lo, s5, v69, vcc_lo
	s_clause 0x2
	global_load_b128 v[92:95], v[68:69], off offset:1920
	global_load_b128 v[96:99], v[68:69], off offset:1952
	;; [unrolled: 1-line block ×3, first 2 shown]
	v_mad_co_u64_u32 v[68:69], null, s8, v70, 0
	v_add_nc_u32_e32 v109, 0x1e6, v70
	v_add_co_u32 v0, vcc_lo, s10, v0
	s_wait_alu 0xfffd
	v_add_co_ci_u32_e32 v1, vcc_lo, s11, v1, vcc_lo
	s_delay_alu instid0(VALU_DEP_4) | instskip(SKIP_2) | instid1(VALU_DEP_3)
	v_mov_b32_e32 v16, v69
	v_mad_co_u64_u32 v[104:105], null, s8, v109, 0
	v_add_nc_u32_e32 v108, 0xf3, v70
	v_mad_co_u64_u32 v[106:107], null, s9, v70, v[16:17]
	s_delay_alu instid0(VALU_DEP_3) | instskip(NEXT) | instid1(VALU_DEP_3)
	v_mov_b32_e32 v69, v105
	v_mad_co_u64_u32 v[74:75], null, s8, v108, 0
	s_delay_alu instid0(VALU_DEP_1) | instskip(NEXT) | instid1(VALU_DEP_1)
	v_mov_b32_e32 v16, v75
	v_mad_co_u64_u32 v[107:108], null, s9, v108, v[16:17]
	s_delay_alu instid0(VALU_DEP_4)
	v_mad_co_u64_u32 v[108:109], null, s9, v109, v[69:70]
	v_mad_co_u64_u32 v[109:110], null, s8, v111, 0
	v_add_nc_u32_e32 v113, 0x4bf, v70
	v_mov_b32_e32 v69, v106
	v_mov_b32_e32 v75, v107
	v_mad_co_u64_u32 v[106:107], null, s8, v112, 0
	v_dual_mov_b32 v105, v108 :: v_dual_mov_b32 v16, v110
	s_delay_alu instid0(VALU_DEP_4) | instskip(NEXT) | instid1(VALU_DEP_1)
	v_lshlrev_b64_e32 v[68:69], 3, v[68:69]
	v_add_co_u32 v68, vcc_lo, v0, v68
	s_wait_alu 0xfffd
	s_delay_alu instid0(VALU_DEP_2)
	v_add_co_ci_u32_e32 v69, vcc_lo, v1, v69, vcc_lo
	s_wait_loadcnt_dscnt 0x80b
	v_mul_f32_e32 v108, v35, v61
	s_wait_loadcnt_dscnt 0x706
	v_mul_f32_e32 v110, v40, v67
	s_wait_loadcnt 0x6
	v_dual_mul_f32 v114, v38, v79 :: v_dual_mul_f32 v115, v49, v77
	v_dual_mul_f32 v116, v36, v63 :: v_dual_mul_f32 v117, v51, v65
	v_dual_mul_f32 v67, v26, v67 :: v_dual_fmac_f32 v108, v15, v60
	v_dual_mul_f32 v61, v15, v61 :: v_dual_fmac_f32 v110, v26, v66
	s_delay_alu instid0(VALU_DEP_4) | instskip(NEXT) | instid1(VALU_DEP_4)
	v_dual_mul_f32 v77, v31, v77 :: v_dual_fmac_f32 v114, v20, v78
	v_dual_mul_f32 v79, v20, v79 :: v_dual_fmac_f32 v116, v18, v62
	v_mul_f32_e32 v65, v33, v65
	v_mul_f32_e32 v63, v18, v63
	v_fmac_f32_e32 v115, v31, v76
	v_fmac_f32_e32 v117, v33, v64
	v_fma_f32 v15, v40, v66, -v67
	v_fma_f32 v18, v35, v60, -v61
	s_wait_loadcnt 0x4
	v_mul_f32_e32 v60, v56, v87
	v_fma_f32 v20, v49, v76, -v77
	v_fma_f32 v26, v38, v78, -v79
	s_wait_loadcnt_dscnt 0x304
	v_mul_f32_e32 v40, v47, v89
	v_fma_f32 v33, v36, v62, -v63
	s_wait_dscnt 0x0
	v_mul_f32_e32 v36, v59, v87
	v_fma_f32 v31, v51, v64, -v65
	v_dual_mul_f32 v35, v45, v81 :: v_dual_sub_f32 v66, v108, v110
	v_mul_f32_e32 v38, v50, v91
	v_dual_mul_f32 v49, v48, v83 :: v_dual_mul_f32 v62, v25, v89
	v_dual_mul_f32 v51, v43, v85 :: v_dual_add_f32 v78, v26, v20
	v_mul_f32_e32 v61, v29, v81
	v_dual_mul_f32 v63, v32, v91 :: v_dual_mul_f32 v64, v23, v85
	v_dual_mul_f32 v65, v30, v83 :: v_dual_sub_f32 v76, v116, v117
	v_dual_sub_f32 v67, v114, v115 :: v_dual_fmac_f32 v36, v56, v86
	v_dual_add_f32 v77, v18, v15 :: v_dual_fmac_f32 v38, v32, v90
	s_wait_loadcnt 0x2
	v_dual_add_f32 v79, v33, v31 :: v_dual_mul_f32 v32, v44, v93
	v_add_f32_e32 v81, v108, v110
	v_dual_add_f32 v83, v114, v115 :: v_dual_fmac_f32 v40, v25, v88
	v_add_f32_e32 v85, v116, v117
	v_dual_sub_f32 v15, v18, v15 :: v_dual_mul_f32 v56, v28, v93
	v_sub_f32_e32 v18, v26, v20
	v_sub_f32_e32 v20, v33, v31
	v_fmac_f32_e32 v35, v29, v80
	v_fmac_f32_e32 v49, v30, v82
	;; [unrolled: 1-line block ×3, first 2 shown]
	v_fma_f32 v23, v59, v86, -v60
	v_fma_f32 v25, v45, v80, -v61
	v_sub_f32_e32 v80, v78, v79
	v_fma_f32 v26, v47, v88, -v62
	v_fma_f32 v29, v50, v90, -v63
	;; [unrolled: 1-line block ×4, first 2 shown]
	s_wait_loadcnt 0x1
	v_dual_mul_f32 v33, v41, v99 :: v_dual_sub_f32 v64, v67, v76
	s_wait_loadcnt 0x0
	v_mul_f32_e32 v43, v39, v103
	v_dual_mul_f32 v45, v46, v101 :: v_dual_mul_f32 v62, v19, v95
	v_mul_f32_e32 v48, v42, v97
	v_mul_f32_e32 v50, v27, v99
	v_dual_mul_f32 v47, v37, v95 :: v_dual_sub_f32 v86, v83, v85
	v_dual_mul_f32 v59, v24, v101 :: v_dual_add_f32 v82, v77, v79
	v_dual_mul_f32 v60, v21, v103 :: v_dual_mul_f32 v61, v22, v97
	v_sub_f32_e32 v84, v81, v83
	v_dual_sub_f32 v63, v66, v67 :: v_dual_sub_f32 v88, v15, v18
	v_dual_add_f32 v65, v67, v76 :: v_dual_sub_f32 v76, v76, v66
	v_sub_f32_e32 v67, v77, v78
	v_add_f32_e32 v87, v81, v85
	v_dual_sub_f32 v89, v18, v20 :: v_dual_sub_f32 v90, v49, v51
	v_add_f32_e32 v18, v18, v20
	v_dual_sub_f32 v20, v20, v15 :: v_dual_sub_f32 v77, v79, v77
	v_sub_f32_e32 v79, v85, v81
	v_sub_f32_e32 v81, v35, v36
	v_dual_add_f32 v91, v25, v23 :: v_dual_fmac_f32 v32, v28, v92
	v_dual_add_f32 v93, v29, v26 :: v_dual_fmac_f32 v48, v22, v96
	v_add_f32_e32 v95, v31, v30
	v_add_f32_e32 v35, v35, v36
	;; [unrolled: 1-line block ×3, first 2 shown]
	v_dual_sub_f32 v85, v38, v40 :: v_dual_add_f32 v38, v49, v51
	v_dual_sub_f32 v23, v25, v23 :: v_dual_add_f32 v18, v15, v18
	v_sub_f32_e32 v25, v29, v26
	v_sub_f32_e32 v26, v31, v30
	v_fmac_f32_e32 v43, v21, v102
	v_fma_f32 v21, v44, v92, -v56
	v_fma_f32 v22, v46, v100, -v59
	;; [unrolled: 1-line block ×3, first 2 shown]
	v_dual_add_f32 v30, v66, v65 :: v_dual_fmac_f32 v33, v27, v98
	v_fma_f32 v27, v42, v96, -v61
	v_dual_mul_f32 v40, 0x3f4a47b2, v84 :: v_dual_fmac_f32 v47, v19, v94
	v_fma_f32 v19, v41, v98, -v50
	v_dual_add_f32 v42, v83, v87 :: v_dual_fmac_f32 v45, v24, v100
	v_add_f32_e32 v56, v85, v90
	v_fma_f32 v24, v39, v102, -v60
	v_mul_f32_e32 v46, 0xbf5ff5aa, v76
	v_mul_f32_e32 v49, 0xbf5ff5aa, v20
	v_dual_mul_f32 v29, 0x3f08b237, v64 :: v_dual_sub_f32 v64, v36, v38
	v_dual_mul_f32 v31, 0x3f4a47b2, v67 :: v_dual_sub_f32 v66, v23, v25
	v_mul_f32_e32 v37, 0x3d64c772, v80
	v_dual_add_f32 v39, v78, v82 :: v_dual_sub_f32 v82, v95, v91
	v_dual_mul_f32 v41, 0x3d64c772, v86 :: v_dual_sub_f32 v80, v90, v81
	v_mul_f32_e32 v44, 0x3f08b237, v89
	v_sub_f32_e32 v50, v81, v85
	v_sub_f32_e32 v51, v85, v90
	v_dual_sub_f32 v59, v91, v93 :: v_dual_add_f32 v86, v21, v19
	v_sub_f32_e32 v60, v93, v95
	v_sub_f32_e32 v62, v35, v36
	v_add_f32_e32 v65, v35, v38
	v_sub_f32_e32 v78, v25, v26
	v_dual_add_f32 v25, v25, v26 :: v_dual_sub_f32 v26, v26, v23
	v_dual_sub_f32 v83, v43, v45 :: v_dual_add_f32 v14, v14, v42
	v_sub_f32_e32 v85, v47, v48
	v_add_f32_e32 v87, v24, v22
	v_add_f32_e32 v89, v28, v27
	v_sub_f32_e32 v19, v21, v19
	v_sub_f32_e32 v21, v24, v22
	;; [unrolled: 1-line block ×3, first 2 shown]
	v_fma_f32 v28, 0x3eae86e6, v63, -v46
	v_fma_f32 v46, 0x3eae86e6, v88, -v49
	v_add_f32_e32 v61, v91, v95
	v_dual_sub_f32 v35, v38, v35 :: v_dual_sub_f32 v38, v32, v33
	v_add_f32_e32 v32, v32, v33
	v_add_f32_e32 v33, v43, v45
	v_dual_add_f32 v43, v47, v48 :: v_dual_add_f32 v36, v36, v65
	v_fmamk_f32 v45, v63, 0xbeae86e6, v29
	v_fmamk_f32 v24, v67, 0x3f4a47b2, v37
	v_fma_f32 v29, 0xbf5ff5aa, v76, -v29
	v_dual_mul_f32 v48, 0x3f4a47b2, v59 :: v_dual_add_f32 v67, v83, v85
	v_fmac_f32_e32 v46, 0xbee1c552, v18
	v_mul_f32_e32 v49, 0x3d64c772, v60
	v_mul_f32_e32 v60, 0x3d64c772, v64
	v_sub_f32_e32 v76, v86, v87
	v_dual_add_f32 v15, v34, v39 :: v_dual_fmamk_f32 v34, v88, 0xbeae86e6, v44
	v_fma_f32 v44, 0xbf5ff5aa, v20, -v44
	v_fma_f32 v31, 0xbf3bfb3b, v77, -v31
	;; [unrolled: 1-line block ×5, first 2 shown]
	v_dual_add_f32 v47, v81, v56 :: v_dual_mul_f32 v56, 0x3f4a47b2, v62
	v_fmamk_f32 v27, v84, 0x3f4a47b2, v41
	v_mul_f32_e32 v41, 0x3f08b237, v51
	v_dual_add_f32 v51, v93, v61 :: v_dual_fmamk_f32 v42, v42, 0xbf955555, v14
	v_mul_f32_e32 v61, 0x3f08b237, v78
	v_dual_add_f32 v23, v23, v25 :: v_dual_fmac_f32 v34, 0xbee1c552, v18
	v_dual_sub_f32 v64, v38, v83 :: v_dual_sub_f32 v65, v83, v85
	v_dual_fmac_f32 v28, 0xbee1c552, v30 :: v_dual_sub_f32 v77, v87, v89
	v_fmac_f32_e32 v44, 0xbee1c552, v18
	v_dual_add_f32 v78, v86, v89 :: v_dual_mul_f32 v25, 0xbf5ff5aa, v80
	v_add_f32_e32 v83, v32, v43
	v_sub_f32_e32 v79, v32, v33
	v_dual_sub_f32 v81, v33, v43 :: v_dual_sub_f32 v84, v19, v21
	v_sub_f32_e32 v88, v21, v22
	v_dual_add_f32 v21, v21, v22 :: v_dual_sub_f32 v32, v43, v32
	v_dual_sub_f32 v22, v22, v19 :: v_dual_fmamk_f32 v39, v39, 0xbf955555, v15
	v_add_f32_e32 v40, v40, v42
	v_fmac_f32_e32 v29, 0xbee1c552, v30
	global_store_b64 v[68:69], v[14:15], off
	v_fmamk_f32 v43, v50, 0xbeae86e6, v41
	v_dual_add_f32 v15, v58, v51 :: v_dual_mul_f32 v68, 0xbf5ff5aa, v22
	v_fmamk_f32 v58, v62, 0x3f4a47b2, v60
	v_add_f32_e32 v14, v55, v36
	v_fma_f32 v56, 0xbf3bfb3b, v35, -v56
	v_fma_f32 v35, 0x3f3bfb3b, v35, -v60
	v_add_f32_e32 v60, v87, v78
	v_fma_f32 v50, 0x3eae86e6, v50, -v25
	v_fmac_f32_e32 v45, 0xbee1c552, v30
	v_mul_f32_e32 v25, 0x3f08b237, v65
	v_dual_mul_f32 v30, 0x3d64c772, v77 :: v_dual_add_f32 v33, v33, v83
	v_mul_f32_e32 v63, 0xbf5ff5aa, v26
	v_dual_sub_f32 v85, v85, v38 :: v_dual_fmamk_f32 v36, v36, 0xbf955555, v14
	v_sub_f32_e32 v86, v89, v86
	v_add_f32_e32 v77, v27, v42
	v_fmamk_f32 v55, v66, 0xbeae86e6, v61
	v_add_f32_e32 v18, v54, v33
	v_fma_f32 v62, 0x3eae86e6, v66, -v63
	v_mul_f32_e32 v66, 0x3f08b237, v88
	v_fma_f32 v61, 0xbf5ff5aa, v26, -v61
	v_dual_add_f32 v38, v38, v67 :: v_dual_fmamk_f32 v59, v59, 0x3f4a47b2, v49
	v_dual_mul_f32 v26, 0x3f4a47b2, v76 :: v_dual_add_f32 v67, v19, v21
	s_delay_alu instid0(VALU_DEP_4)
	v_dual_add_f32 v27, v37, v39 :: v_dual_fmamk_f32 v54, v84, 0xbeae86e6, v66
	v_add_f32_e32 v37, v20, v42
	v_fmamk_f32 v42, v76, 0x3f4a47b2, v30
	v_fma_f32 v66, 0xbf5ff5aa, v22, -v66
	v_sub_f32_e32 v22, v40, v46
	v_fma_f32 v76, 0xbf5ff5aa, v85, -v25
	v_lshlrev_b64_e32 v[74:75], 3, v[74:75]
	v_mul_f32_e32 v63, 0x3f4a47b2, v79
	v_mul_f32_e32 v65, 0x3d64c772, v81
	v_add_f32_e32 v69, v24, v39
	v_add_f32_e32 v31, v31, v39
	;; [unrolled: 1-line block ×3, first 2 shown]
	v_fma_f32 v57, 0xbf3bfb3b, v86, -v26
	v_add_f32_e32 v24, v44, v37
	v_sub_f32_e32 v26, v37, v44
	v_add_f32_e32 v44, v58, v36
	v_dual_sub_f32 v20, v77, v34 :: v_dual_fmac_f32 v55, 0xbee1c552, v23
	v_fmac_f32_e32 v76, 0xbee1c552, v38
	v_fmamk_f32 v39, v51, 0xbf955555, v15
	v_mul_f32_e32 v21, 0xbf5ff5aa, v85
	v_add_co_u32 v74, vcc_lo, v0, v74
	s_wait_alu 0xfffd
	v_add_co_ci_u32_e32 v75, vcc_lo, v1, v75, vcc_lo
	v_fma_f32 v49, 0x3f3bfb3b, v82, -v49
	v_fma_f32 v41, 0xbf5ff5aa, v80, -v41
	v_fmac_f32_e32 v50, 0xbee1c552, v47
	v_fmac_f32_e32 v62, 0xbee1c552, v23
	;; [unrolled: 1-line block ×3, first 2 shown]
	v_fmamk_f32 v78, v64, 0xbeae86e6, v25
	v_add_f32_e32 v23, v28, v31
	v_sub_f32_e32 v25, v27, v29
	v_add_f32_e32 v27, v29, v27
	v_sub_f32_e32 v29, v31, v28
	v_add_f32_e32 v28, v46, v40
	v_add_f32_e32 v40, v59, v39
	v_fma_f32 v51, 0x3eae86e6, v64, -v21
	v_fma_f32 v64, 0x3eae86e6, v84, -v68
	;; [unrolled: 1-line block ×3, first 2 shown]
	v_add_f32_e32 v30, v34, v77
	v_dual_sub_f32 v31, v69, v45 :: v_dual_add_f32 v46, v56, v36
	v_dual_fmac_f32 v43, 0xbee1c552, v47 :: v_dual_fmac_f32 v78, 0xbee1c552, v38
	v_dual_fmac_f32 v41, 0xbee1c552, v47 :: v_dual_add_f32 v36, v35, v36
	v_dual_fmac_f32 v54, 0xbee1c552, v67 :: v_dual_fmac_f32 v51, 0xbee1c552, v38
	v_fmac_f32_e32 v66, 0xbee1c552, v67
	global_store_b64 v[74:75], v[30:31], off
	v_sub_f32_e32 v30, v44, v55
	v_add_f32_e32 v37, v49, v39
	v_dual_fmamk_f32 v49, v33, 0xbf955555, v18 :: v_dual_add_f32 v38, v62, v46
	v_dual_fmamk_f32 v47, v79, 0x3f4a47b2, v65 :: v_dual_add_f32 v34, v61, v36
	v_fma_f32 v65, 0x3f3bfb3b, v32, -v65
	v_fma_f32 v48, 0xbf3bfb3b, v82, -v48
	;; [unrolled: 1-line block ×3, first 2 shown]
	v_dual_fmac_f32 v64, 0xbee1c552, v67 :: v_dual_add_f32 v21, v45, v69
	s_delay_alu instid0(VALU_DEP_4) | instskip(SKIP_3) | instid1(VALU_DEP_4)
	v_add_f32_e32 v58, v65, v49
	v_dual_sub_f32 v32, v46, v62 :: v_dual_add_f32 v31, v43, v40
	v_lshlrev_b64_e32 v[104:105], 3, v[104:105]
	v_sub_f32_e32 v36, v36, v61
	v_dual_add_f32 v46, v66, v58 :: v_dual_add_f32 v45, v48, v39
	v_add_f32_e32 v56, v47, v49
	v_dual_fmamk_f32 v48, v60, 0xbf955555, v19 :: v_dual_sub_f32 v35, v37, v41
	v_add_f32_e32 v37, v41, v37
	s_delay_alu instid0(VALU_DEP_4) | instskip(SKIP_1) | instid1(VALU_DEP_4)
	v_add_f32_e32 v33, v50, v45
	v_sub_f32_e32 v39, v45, v50
	v_dual_add_f32 v50, v57, v48 :: v_dual_add_f32 v57, v63, v49
	v_dual_sub_f32 v41, v40, v43 :: v_dual_add_f32 v40, v55, v44
	v_add_f32_e32 v55, v42, v48
	v_add_f32_e32 v48, v68, v48
	v_sub_f32_e32 v42, v56, v54
	v_dual_add_f32 v45, v51, v50 :: v_dual_sub_f32 v44, v57, v64
	v_dual_sub_f32 v51, v50, v51 :: v_dual_add_f32 v50, v64, v57
	v_add_f32_e32 v54, v54, v56
	v_mad_co_u64_u32 v[56:57], null, s9, v111, v[16:17]
	v_sub_f32_e32 v47, v48, v76
	v_dual_add_f32 v49, v76, v48 :: v_dual_sub_f32 v48, v58, v66
	v_mov_b32_e32 v16, v107
	v_mad_co_u64_u32 v[57:58], null, s8, v113, 0
	v_add_co_u32 v59, vcc_lo, v0, v104
	s_delay_alu instid0(VALU_DEP_3) | instskip(SKIP_2) | instid1(VALU_DEP_4)
	v_mad_co_u64_u32 v[61:62], null, s9, v112, v[16:17]
	s_wait_alu 0xfffd
	v_add_co_ci_u32_e32 v60, vcc_lo, v1, v105, vcc_lo
	v_mov_b32_e32 v16, v58
	v_dual_mov_b32 v110, v56 :: v_dual_add_f32 v43, v78, v55
	global_store_b64 v[59:60], v[28:29], off
	v_mov_b32_e32 v107, v61
	v_mad_co_u64_u32 v[58:59], null, s9, v113, v[16:17]
	v_lshlrev_b64_e32 v[28:29], 3, v[109:110]
	v_mad_co_u64_u32 v[63:64], null, s8, v73, 0
	s_delay_alu instid0(VALU_DEP_4) | instskip(NEXT) | instid1(VALU_DEP_3)
	v_lshlrev_b64_e32 v[61:62], 3, v[106:107]
	v_add_co_u32 v28, vcc_lo, v0, v28
	v_lshlrev_b64_e32 v[56:57], 3, v[57:58]
	s_wait_alu 0xfffd
	v_add_co_ci_u32_e32 v29, vcc_lo, v1, v29, vcc_lo
	s_delay_alu instid0(VALU_DEP_4)
	v_add_co_u32 v61, vcc_lo, v0, v61
	s_wait_alu 0xfffd
	v_add_co_ci_u32_e32 v62, vcc_lo, v1, v62, vcc_lo
	v_add_co_u32 v56, vcc_lo, v0, v56
	s_wait_alu 0xfffd
	v_add_co_ci_u32_e32 v57, vcc_lo, v1, v57, vcc_lo
	s_clause 0x2
	global_store_b64 v[28:29], v[26:27], off
	global_store_b64 v[61:62], v[24:25], off
	;; [unrolled: 1-line block ×3, first 2 shown]
	v_add_nc_u32_e32 v62, 0x318, v70
	v_add_nc_u32_e32 v58, 0x132, v70
	;; [unrolled: 1-line block ×3, first 2 shown]
	s_delay_alu instid0(VALU_DEP_3) | instskip(SKIP_1) | instid1(VALU_DEP_1)
	v_mad_co_u64_u32 v[56:57], null, s8, v62, 0
	v_add_nc_u32_e32 v65, 0x5b2, v70
	v_mad_co_u64_u32 v[59:60], null, s8, v65, 0
	s_delay_alu instid0(VALU_DEP_1) | instskip(NEXT) | instid1(VALU_DEP_1)
	v_mov_b32_e32 v16, v60
	v_mad_co_u64_u32 v[65:66], null, s9, v65, v[16:17]
	v_mad_co_u64_u32 v[66:67], null, s8, v58, 0
	v_mov_b32_e32 v16, v64
	s_delay_alu instid0(VALU_DEP_3) | instskip(NEXT) | instid1(VALU_DEP_2)
	v_mov_b32_e32 v60, v65
	v_mad_co_u64_u32 v[68:69], null, s9, v73, v[16:17]
	s_delay_alu instid0(VALU_DEP_4) | instskip(NEXT) | instid1(VALU_DEP_3)
	v_mov_b32_e32 v16, v67
	v_lshlrev_b64_e32 v[22:23], 3, v[59:60]
	s_delay_alu instid0(VALU_DEP_2) | instskip(NEXT) | instid1(VALU_DEP_4)
	v_mad_co_u64_u32 v[24:25], null, s9, v58, v[16:17]
	v_mov_b32_e32 v64, v68
	v_mad_co_u64_u32 v[25:26], null, s8, v29, 0
	v_sub_f32_e32 v55, v55, v78
	v_add_co_u32 v22, vcc_lo, v0, v22
	v_mov_b32_e32 v67, v24
	v_lshlrev_b64_e32 v[27:28], 3, v[63:64]
	s_wait_alu 0xfffd
	v_add_co_ci_u32_e32 v23, vcc_lo, v1, v23, vcc_lo
	v_mov_b32_e32 v16, v26
	v_lshlrev_b64_e32 v[58:59], 3, v[66:67]
	s_delay_alu instid0(VALU_DEP_4) | instskip(NEXT) | instid1(VALU_DEP_3)
	v_add_co_u32 v27, vcc_lo, v0, v27
	v_mad_co_u64_u32 v[60:61], null, s9, v29, v[16:17]
	s_wait_alu 0xfffd
	v_add_co_ci_u32_e32 v28, vcc_lo, v1, v28, vcc_lo
	v_mov_b32_e32 v16, v57
	v_add_co_u32 v57, vcc_lo, v0, v58
	s_wait_alu 0xfffd
	v_add_co_ci_u32_e32 v58, vcc_lo, v1, v59, vcc_lo
	v_dual_mov_b32 v26, v60 :: v_dual_add_nc_u32 v29, 0x40b, v70
	v_mad_co_u64_u32 v[59:60], null, s9, v62, v[16:17]
	s_clause 0x2
	global_store_b64 v[22:23], v[20:21], off
	global_store_b64 v[27:28], v[18:19], off
	;; [unrolled: 1-line block ×3, first 2 shown]
	v_mad_co_u64_u32 v[20:21], null, s8, v29, 0
	v_add_nc_u32_e32 v54, 0x4fe, v70
	v_mul_hi_u32 v27, 0x86d90545, v71
	v_lshlrev_b64_e32 v[18:19], 3, v[25:26]
	s_delay_alu instid0(VALU_DEP_3) | instskip(SKIP_1) | instid1(VALU_DEP_4)
	v_mad_co_u64_u32 v[23:24], null, s8, v54, 0
	v_dual_mov_b32 v16, v21 :: v_dual_mov_b32 v57, v59
	v_lshrrev_b32_e32 v55, 7, v27
	s_delay_alu instid0(VALU_DEP_4) | instskip(NEXT) | instid1(VALU_DEP_3)
	v_add_co_u32 v18, vcc_lo, v0, v18
	v_mad_co_u64_u32 v[25:26], null, s9, v29, v[16:17]
	v_mov_b32_e32 v16, v24
	v_lshlrev_b64_e32 v[21:22], 3, v[56:57]
	v_add_nc_u32_e32 v57, 0x5f1, v70
	v_mad_u32_u24 v58, 0x5b2, v55, v71
	s_wait_alu 0xfffd
	v_add_co_ci_u32_e32 v19, vcc_lo, v1, v19, vcc_lo
	v_mad_co_u64_u32 v[54:55], null, s9, v54, v[16:17]
	v_mad_co_u64_u32 v[28:29], null, s8, v57, 0
	v_add_co_u32 v26, vcc_lo, v0, v21
	v_mov_b32_e32 v21, v25
	v_mad_co_u64_u32 v[55:56], null, s8, v58, 0
	v_mov_b32_e32 v24, v54
	v_mov_b32_e32 v16, v29
	global_store_b64 v[18:19], v[50:51], off
	v_lshlrev_b64_e32 v[18:19], 3, v[20:21]
	s_wait_alu 0xfffd
	v_add_co_ci_u32_e32 v27, vcc_lo, v1, v22, vcc_lo
	v_mad_co_u64_u32 v[20:21], null, s9, v57, v[16:17]
	v_mov_b32_e32 v16, v56
	s_delay_alu instid0(VALU_DEP_4)
	v_add_co_u32 v18, vcc_lo, v0, v18
	global_store_b64 v[26:27], v[48:49], off
	s_wait_alu 0xfffd
	v_add_co_ci_u32_e32 v19, vcc_lo, v1, v19, vcc_lo
	v_dual_mov_b32 v29, v20 :: v_dual_add_nc_u32 v26, 0xf3, v58
	v_lshlrev_b64_e32 v[21:22], 3, v[23:24]
	v_mad_co_u64_u32 v[23:24], null, s9, v58, v[16:17]
	global_store_b64 v[18:19], v[46:47], off
	v_mad_co_u64_u32 v[24:25], null, s8, v26, 0
	v_lshlrev_b64_e32 v[18:19], 3, v[28:29]
	v_add_co_u32 v20, vcc_lo, v0, v21
	s_wait_alu 0xfffd
	v_add_co_ci_u32_e32 v21, vcc_lo, v1, v22, vcc_lo
	v_dual_mov_b32 v56, v23 :: v_dual_add_nc_u32 v27, 0x2d9, v58
	s_delay_alu instid0(VALU_DEP_4)
	v_add_co_u32 v18, vcc_lo, v0, v18
	v_mov_b32_e32 v16, v25
	s_wait_alu 0xfffd
	v_add_co_ci_u32_e32 v19, vcc_lo, v1, v19, vcc_lo
	global_store_b64 v[20:21], v[44:45], off
	v_lshlrev_b64_e32 v[20:21], 3, v[55:56]
	v_add_nc_u32_e32 v28, 0x3cc, v58
	global_store_b64 v[18:19], v[42:43], off
	v_add_nc_u32_e32 v43, 0x5b2, v58
	v_mad_co_u64_u32 v[22:23], null, s9, v26, v[16:17]
	v_add_nc_u32_e32 v26, 0x1e6, v58
	v_add_co_u32 v20, vcc_lo, v0, v20
	s_wait_alu 0xfffd
	v_add_co_ci_u32_e32 v21, vcc_lo, v1, v21, vcc_lo
	v_mad_co_u64_u32 v[18:19], null, s8, v27, 0
	v_mov_b32_e32 v25, v22
	v_mad_co_u64_u32 v[22:23], null, s8, v26, 0
	global_store_b64 v[20:21], v[14:15], off
	v_mad_co_u64_u32 v[20:21], null, s8, v28, 0
	v_lshlrev_b64_e32 v[14:15], 3, v[24:25]
	v_add_nc_u32_e32 v42, 0x4bf, v58
	v_mov_b32_e32 v16, v23
	s_delay_alu instid0(VALU_DEP_3) | instskip(NEXT) | instid1(VALU_DEP_2)
	v_add_co_u32 v14, vcc_lo, v0, v14
	v_mad_co_u64_u32 v[23:24], null, s9, v26, v[16:17]
	v_mad_co_u64_u32 v[24:25], null, s9, v27, v[19:20]
	v_mov_b32_e32 v16, v21
	v_mad_co_u64_u32 v[25:26], null, s8, v42, 0
	s_wait_alu 0xfffd
	v_add_co_ci_u32_e32 v15, vcc_lo, v1, v15, vcc_lo
	s_delay_alu instid0(VALU_DEP_3)
	v_mad_co_u64_u32 v[27:28], null, s9, v28, v[16:17]
	v_mad_co_u64_u32 v[28:29], null, s8, v43, 0
	global_store_b64 v[14:15], v[40:41], off
	v_lshlrev_b64_e32 v[15:16], 3, v[22:23]
	v_dual_mov_b32 v14, v26 :: v_dual_mov_b32 v19, v24
	v_mov_b32_e32 v21, v27
	s_delay_alu instid0(VALU_DEP_2)
	v_mad_co_u64_u32 v[22:23], null, s9, v42, v[14:15]
	v_mov_b32_e32 v14, v29
	v_add_co_u32 v15, vcc_lo, v0, v15
	v_lshlrev_b64_e32 v[18:19], 3, v[18:19]
	v_lshlrev_b64_e32 v[20:21], 3, v[20:21]
	s_wait_alu 0xfffd
	v_add_co_ci_u32_e32 v16, vcc_lo, v1, v16, vcc_lo
	v_mad_co_u64_u32 v[23:24], null, s9, v43, v[14:15]
	v_mov_b32_e32 v26, v22
	v_add_co_u32 v18, vcc_lo, v0, v18
	s_wait_alu 0xfffd
	v_add_co_ci_u32_e32 v19, vcc_lo, v1, v19, vcc_lo
	s_delay_alu instid0(VALU_DEP_3) | instskip(SKIP_4) | instid1(VALU_DEP_3)
	v_lshlrev_b64_e32 v[24:25], 3, v[25:26]
	v_mov_b32_e32 v29, v23
	v_add_co_u32 v20, vcc_lo, v0, v20
	s_wait_alu 0xfffd
	v_add_co_ci_u32_e32 v21, vcc_lo, v1, v21, vcc_lo
	v_lshlrev_b64_e32 v[22:23], 3, v[28:29]
	v_add_co_u32 v24, vcc_lo, v0, v24
	s_wait_alu 0xfffd
	v_add_co_ci_u32_e32 v25, vcc_lo, v1, v25, vcc_lo
	s_delay_alu instid0(VALU_DEP_3)
	v_add_co_u32 v22, vcc_lo, v0, v22
	s_wait_alu 0xfffd
	v_add_co_ci_u32_e32 v23, vcc_lo, v1, v23, vcc_lo
	s_clause 0x4
	global_store_b64 v[15:16], v[38:39], off
	global_store_b64 v[18:19], v[36:37], off
	;; [unrolled: 1-line block ×5, first 2 shown]
	s_and_b32 exec_lo, exec_lo, s0
	s_cbranch_execz .LBB0_20
; %bb.19:
	v_subrev_nc_u32_e32 v14, 54, v70
	v_add_nc_u32_e32 v40, 0xbd, v70
	v_add_nc_u32_e32 v42, 0x1b0, v70
	;; [unrolled: 1-line block ×3, first 2 shown]
	s_delay_alu instid0(VALU_DEP_4) | instskip(NEXT) | instid1(VALU_DEP_4)
	v_cndmask_b32_e64 v14, v14, v72, s0
	v_mad_co_u64_u32 v[26:27], null, s8, v40, 0
	s_delay_alu instid0(VALU_DEP_4) | instskip(NEXT) | instid1(VALU_DEP_3)
	v_mad_co_u64_u32 v[28:29], null, s8, v42, 0
	v_mul_i32_i24_e32 v16, 6, v14
	v_mad_co_u64_u32 v[32:33], null, s8, v44, 0
	s_delay_alu instid0(VALU_DEP_2) | instskip(NEXT) | instid1(VALU_DEP_4)
	v_lshlrev_b64_e32 v[14:15], 3, v[16:17]
	v_mad_co_u64_u32 v[40:41], null, s9, v40, v[27:28]
	s_delay_alu instid0(VALU_DEP_2) | instskip(SKIP_1) | instid1(VALU_DEP_3)
	v_add_co_u32 v22, vcc_lo, s4, v14
	s_wait_alu 0xfffd
	v_add_co_ci_u32_e32 v23, vcc_lo, s5, v15, vcc_lo
	s_delay_alu instid0(VALU_DEP_3)
	v_mov_b32_e32 v27, v40
	s_clause 0x2
	global_load_b128 v[14:17], v[22:23], off offset:1920
	global_load_b128 v[18:21], v[22:23], off offset:1936
	;; [unrolled: 1-line block ×3, first 2 shown]
	v_add_nc_u32_e32 v43, 0x2a3, v70
	v_add_nc_u32_e32 v45, 0x489, v70
	;; [unrolled: 1-line block ×3, first 2 shown]
	v_lshlrev_b64_e32 v[26:27], 3, v[26:27]
	s_delay_alu instid0(VALU_DEP_4) | instskip(NEXT) | instid1(VALU_DEP_4)
	v_mad_co_u64_u32 v[30:31], null, s8, v43, 0
	v_mad_co_u64_u32 v[34:35], null, s8, v45, 0
	s_delay_alu instid0(VALU_DEP_3) | instskip(SKIP_1) | instid1(VALU_DEP_4)
	v_add_co_u32 v26, vcc_lo, v0, v26
	s_wait_alu 0xfffd
	v_add_co_ci_u32_e32 v27, vcc_lo, v1, v27, vcc_lo
	s_delay_alu instid0(VALU_DEP_4) | instskip(SKIP_1) | instid1(VALU_DEP_2)
	v_mad_co_u64_u32 v[41:42], null, s9, v42, v[29:30]
	v_mad_co_u64_u32 v[42:43], null, s9, v43, v[31:32]
	v_mov_b32_e32 v29, v41
	s_delay_alu instid0(VALU_DEP_2) | instskip(SKIP_2) | instid1(VALU_DEP_4)
	v_mov_b32_e32 v31, v42
	v_mad_co_u64_u32 v[43:44], null, s9, v44, v[33:34]
	v_add_nc_u32_e32 v46, 0x57c, v70
	v_lshlrev_b64_e32 v[28:29], 3, v[28:29]
	s_delay_alu instid0(VALU_DEP_4) | instskip(NEXT) | instid1(VALU_DEP_4)
	v_lshlrev_b64_e32 v[30:31], 3, v[30:31]
	v_mov_b32_e32 v33, v43
	s_delay_alu instid0(VALU_DEP_4) | instskip(NEXT) | instid1(VALU_DEP_4)
	v_mad_co_u64_u32 v[36:37], null, s8, v46, 0
	v_add_co_u32 v28, vcc_lo, v0, v28
	s_delay_alu instid0(VALU_DEP_3)
	v_lshlrev_b64_e32 v[32:33], 3, v[32:33]
	s_wait_alu 0xfffd
	v_add_co_ci_u32_e32 v29, vcc_lo, v1, v29, vcc_lo
	v_add_co_u32 v30, vcc_lo, v0, v30
	v_mad_co_u64_u32 v[44:45], null, s9, v45, v[35:36]
	s_wait_alu 0xfffd
	v_add_co_ci_u32_e32 v31, vcc_lo, v1, v31, vcc_lo
	v_add_co_u32 v32, vcc_lo, v0, v32
	s_wait_alu 0xfffd
	v_add_co_ci_u32_e32 v33, vcc_lo, v1, v33, vcc_lo
	s_wait_loadcnt 0x0
	v_mul_f32_e32 v42, v8, v23
	v_mad_co_u64_u32 v[38:39], null, s8, v47, 0
	v_mul_f32_e32 v23, v2, v23
	s_delay_alu instid0(VALU_DEP_3) | instskip(SKIP_1) | instid1(VALU_DEP_3)
	v_dual_mul_f32 v41, v13, v21 :: v_dual_fmac_f32 v42, v2, v22
	v_mul_f32_e32 v43, v9, v25
	v_fma_f32 v2, v8, v22, -v23
	v_mad_co_u64_u32 v[45:46], null, s9, v46, v[37:38]
	v_mad_co_u64_u32 v[46:47], null, s9, v47, v[39:40]
	v_mul_f32_e32 v40, v12, v19
	v_mov_b32_e32 v35, v44
	v_fmac_f32_e32 v43, v3, v24
	s_delay_alu instid0(VALU_DEP_3) | instskip(NEXT) | instid1(VALU_DEP_3)
	v_dual_mov_b32 v37, v45 :: v_dual_fmac_f32 v40, v10, v18
	v_lshlrev_b64_e32 v[34:35], 3, v[34:35]
	v_mov_b32_e32 v39, v46
	s_delay_alu instid0(VALU_DEP_3) | instskip(NEXT) | instid1(VALU_DEP_2)
	v_lshlrev_b64_e32 v[36:37], 3, v[36:37]
	v_lshlrev_b64_e32 v[38:39], 3, v[38:39]
	s_delay_alu instid0(VALU_DEP_4) | instskip(SKIP_2) | instid1(VALU_DEP_4)
	v_add_co_u32 v34, vcc_lo, v0, v34
	s_wait_alu 0xfffd
	v_add_co_ci_u32_e32 v35, vcc_lo, v1, v35, vcc_lo
	v_add_co_u32 v36, vcc_lo, v0, v36
	s_wait_alu 0xfffd
	v_add_co_ci_u32_e32 v37, vcc_lo, v1, v37, vcc_lo
	v_add_co_u32 v0, vcc_lo, v0, v38
	v_mul_f32_e32 v38, v6, v15
	s_wait_alu 0xfffd
	v_add_co_ci_u32_e32 v1, vcc_lo, v1, v39, vcc_lo
	s_delay_alu instid0(VALU_DEP_2) | instskip(NEXT) | instid1(VALU_DEP_1)
	v_dual_fmac_f32 v38, v4, v14 :: v_dual_mul_f32 v39, v7, v17
	v_dual_mul_f32 v17, v5, v17 :: v_dual_add_f32 v8, v38, v43
	s_delay_alu instid0(VALU_DEP_2) | instskip(SKIP_4) | instid1(VALU_DEP_4)
	v_fmac_f32_e32 v39, v5, v16
	v_mul_f32_e32 v15, v4, v15
	v_mul_f32_e32 v19, v10, v19
	v_dual_sub_f32 v10, v38, v43 :: v_dual_fmac_f32 v41, v11, v20
	v_mul_f32_e32 v21, v11, v21
	v_fma_f32 v4, v6, v14, -v15
	v_fma_f32 v5, v7, v16, -v17
	;; [unrolled: 1-line block ×3, first 2 shown]
	v_sub_f32_e32 v14, v41, v40
	v_fma_f32 v7, v13, v20, -v21
	s_delay_alu instid0(VALU_DEP_4) | instskip(NEXT) | instid1(VALU_DEP_2)
	v_add_f32_e32 v11, v5, v2
	v_dual_sub_f32 v2, v5, v2 :: v_dual_add_f32 v13, v6, v7
	v_dual_sub_f32 v6, v7, v6 :: v_dual_add_f32 v5, v40, v41
	v_mul_f32_e32 v25, v3, v25
	s_delay_alu instid0(VALU_DEP_2) | instskip(SKIP_1) | instid1(VALU_DEP_3)
	v_add_f32_e32 v19, v6, v2
	v_sub_f32_e32 v21, v6, v2
	v_fma_f32 v3, v9, v24, -v25
	s_delay_alu instid0(VALU_DEP_1) | instskip(SKIP_1) | instid1(VALU_DEP_1)
	v_add_f32_e32 v9, v4, v3
	v_dual_sub_f32 v3, v4, v3 :: v_dual_add_f32 v4, v39, v42
	v_add_f32_e32 v7, v4, v8
	v_sub_f32_e32 v16, v4, v8
	v_sub_f32_e32 v8, v8, v5
	;; [unrolled: 1-line block ×3, first 2 shown]
	s_delay_alu instid0(VALU_DEP_2) | instskip(NEXT) | instid1(VALU_DEP_2)
	v_mul_f32_e32 v8, 0x3f4a47b2, v8
	v_add_f32_e32 v18, v14, v12
	v_sub_f32_e32 v20, v14, v12
	v_sub_f32_e32 v6, v3, v6
	;; [unrolled: 1-line block ×3, first 2 shown]
	v_dual_sub_f32 v22, v2, v3 :: v_dual_add_f32 v15, v11, v9
	v_sub_f32_e32 v17, v11, v9
	v_dual_sub_f32 v11, v13, v11 :: v_dual_sub_f32 v14, v10, v14
	v_sub_f32_e32 v12, v12, v10
	v_dual_add_f32 v10, v18, v10 :: v_dual_add_f32 v5, v5, v7
	s_delay_alu instid0(VALU_DEP_3)
	v_mul_f32_e32 v18, 0x3d64c772, v11
	v_add_f32_e32 v7, v13, v15
	v_mul_f32_e32 v15, 0x3d64c772, v4
	v_sub_f32_e32 v9, v9, v13
	v_dual_add_f32 v2, v52, v5 :: v_dual_add_f32 v13, v19, v3
	v_fmamk_f32 v4, v4, 0x3d64c772, v8
	s_delay_alu instid0(VALU_DEP_4) | instskip(SKIP_4) | instid1(VALU_DEP_4)
	v_fma_f32 v15, 0x3f3bfb3b, v16, -v15
	v_dual_mul_f32 v19, 0x3f08b237, v20 :: v_dual_mul_f32 v20, 0x3f08b237, v21
	v_mul_f32_e32 v21, 0xbf5ff5aa, v12
	v_fma_f32 v8, 0xbf3bfb3b, v16, -v8
	v_mul_f32_e32 v23, 0xbf5ff5aa, v22
	v_fmamk_f32 v16, v14, 0xbeae86e6, v19
	v_mul_f32_e32 v9, 0x3f4a47b2, v9
	v_fma_f32 v12, 0xbf5ff5aa, v12, -v19
	v_fma_f32 v19, 0xbf5ff5aa, v22, -v20
	;; [unrolled: 1-line block ×3, first 2 shown]
	v_fmac_f32_e32 v16, 0xbee1c552, v10
	v_fmamk_f32 v5, v5, 0xbf955555, v2
	v_fmamk_f32 v11, v11, 0x3d64c772, v9
	v_fma_f32 v18, 0x3f3bfb3b, v17, -v18
	v_fma_f32 v9, 0xbf3bfb3b, v17, -v9
	v_fmac_f32_e32 v12, 0xbee1c552, v10
	v_dual_fmac_f32 v14, 0xbee1c552, v10 :: v_dual_fmac_f32 v19, 0xbee1c552, v13
	v_dual_add_f32 v10, v15, v5 :: v_dual_fmamk_f32 v17, v6, 0xbeae86e6, v20
	v_fma_f32 v20, 0x3eae86e6, v6, -v23
	v_add_f32_e32 v3, v53, v7
	s_delay_alu instid0(VALU_DEP_3) | instskip(NEXT) | instid1(VALU_DEP_3)
	v_fmac_f32_e32 v17, 0xbee1c552, v13
	v_fmac_f32_e32 v20, 0xbee1c552, v13
	s_delay_alu instid0(VALU_DEP_3) | instskip(SKIP_3) | instid1(VALU_DEP_1)
	v_dual_fmamk_f32 v6, v7, 0xbf955555, v3 :: v_dual_add_f32 v13, v4, v5
	global_store_b64 v[26:27], v[2:3], off
	v_add_f32_e32 v15, v9, v6
	v_dual_add_f32 v9, v18, v6 :: v_dual_add_f32 v2, v17, v13
	v_add_f32_e32 v7, v12, v9
	v_sub_f32_e32 v9, v9, v12
	v_dual_sub_f32 v12, v13, v17 :: v_dual_add_f32 v21, v11, v6
	v_add_f32_e32 v11, v8, v5
	v_dual_sub_f32 v5, v15, v14 :: v_dual_sub_f32 v6, v10, v19
	s_delay_alu instid0(VALU_DEP_3) | instskip(NEXT) | instid1(VALU_DEP_3)
	v_dual_add_f32 v8, v19, v10 :: v_dual_sub_f32 v3, v21, v16
	v_add_f32_e32 v4, v20, v11
	v_dual_sub_f32 v10, v11, v20 :: v_dual_add_f32 v11, v14, v15
	v_add_f32_e32 v13, v16, v21
	s_clause 0x5
	global_store_b64 v[28:29], v[2:3], off
	global_store_b64 v[30:31], v[4:5], off
	;; [unrolled: 1-line block ×6, first 2 shown]
.LBB0_20:
	s_nop 0
	s_sendmsg sendmsg(MSG_DEALLOC_VGPRS)
	s_endpgm
	.section	.rodata,"a",@progbits
	.p2align	6, 0x0
	.amdhsa_kernel fft_rtc_back_len1701_factors_3_3_3_3_3_7_wgs_63_tpt_63_halfLds_sp_ip_CI_sbrr_dirReg
		.amdhsa_group_segment_fixed_size 0
		.amdhsa_private_segment_fixed_size 0
		.amdhsa_kernarg_size 88
		.amdhsa_user_sgpr_count 2
		.amdhsa_user_sgpr_dispatch_ptr 0
		.amdhsa_user_sgpr_queue_ptr 0
		.amdhsa_user_sgpr_kernarg_segment_ptr 1
		.amdhsa_user_sgpr_dispatch_id 0
		.amdhsa_user_sgpr_private_segment_size 0
		.amdhsa_wavefront_size32 1
		.amdhsa_uses_dynamic_stack 0
		.amdhsa_enable_private_segment 0
		.amdhsa_system_sgpr_workgroup_id_x 1
		.amdhsa_system_sgpr_workgroup_id_y 0
		.amdhsa_system_sgpr_workgroup_id_z 0
		.amdhsa_system_sgpr_workgroup_info 0
		.amdhsa_system_vgpr_workitem_id 0
		.amdhsa_next_free_vgpr 142
		.amdhsa_next_free_sgpr 35
		.amdhsa_reserve_vcc 1
		.amdhsa_float_round_mode_32 0
		.amdhsa_float_round_mode_16_64 0
		.amdhsa_float_denorm_mode_32 3
		.amdhsa_float_denorm_mode_16_64 3
		.amdhsa_fp16_overflow 0
		.amdhsa_workgroup_processor_mode 1
		.amdhsa_memory_ordered 1
		.amdhsa_forward_progress 0
		.amdhsa_round_robin_scheduling 0
		.amdhsa_exception_fp_ieee_invalid_op 0
		.amdhsa_exception_fp_denorm_src 0
		.amdhsa_exception_fp_ieee_div_zero 0
		.amdhsa_exception_fp_ieee_overflow 0
		.amdhsa_exception_fp_ieee_underflow 0
		.amdhsa_exception_fp_ieee_inexact 0
		.amdhsa_exception_int_div_zero 0
	.end_amdhsa_kernel
	.text
.Lfunc_end0:
	.size	fft_rtc_back_len1701_factors_3_3_3_3_3_7_wgs_63_tpt_63_halfLds_sp_ip_CI_sbrr_dirReg, .Lfunc_end0-fft_rtc_back_len1701_factors_3_3_3_3_3_7_wgs_63_tpt_63_halfLds_sp_ip_CI_sbrr_dirReg
                                        ; -- End function
	.section	.AMDGPU.csdata,"",@progbits
; Kernel info:
; codeLenInByte = 20300
; NumSgprs: 37
; NumVgprs: 142
; ScratchSize: 0
; MemoryBound: 0
; FloatMode: 240
; IeeeMode: 1
; LDSByteSize: 0 bytes/workgroup (compile time only)
; SGPRBlocks: 4
; VGPRBlocks: 17
; NumSGPRsForWavesPerEU: 37
; NumVGPRsForWavesPerEU: 142
; Occupancy: 10
; WaveLimiterHint : 1
; COMPUTE_PGM_RSRC2:SCRATCH_EN: 0
; COMPUTE_PGM_RSRC2:USER_SGPR: 2
; COMPUTE_PGM_RSRC2:TRAP_HANDLER: 0
; COMPUTE_PGM_RSRC2:TGID_X_EN: 1
; COMPUTE_PGM_RSRC2:TGID_Y_EN: 0
; COMPUTE_PGM_RSRC2:TGID_Z_EN: 0
; COMPUTE_PGM_RSRC2:TIDIG_COMP_CNT: 0
	.text
	.p2alignl 7, 3214868480
	.fill 96, 4, 3214868480
	.type	__hip_cuid_8996ef448a13d1ec,@object ; @__hip_cuid_8996ef448a13d1ec
	.section	.bss,"aw",@nobits
	.globl	__hip_cuid_8996ef448a13d1ec
__hip_cuid_8996ef448a13d1ec:
	.byte	0                               ; 0x0
	.size	__hip_cuid_8996ef448a13d1ec, 1

	.ident	"AMD clang version 19.0.0git (https://github.com/RadeonOpenCompute/llvm-project roc-6.4.0 25133 c7fe45cf4b819c5991fe208aaa96edf142730f1d)"
	.section	".note.GNU-stack","",@progbits
	.addrsig
	.addrsig_sym __hip_cuid_8996ef448a13d1ec
	.amdgpu_metadata
---
amdhsa.kernels:
  - .args:
      - .actual_access:  read_only
        .address_space:  global
        .offset:         0
        .size:           8
        .value_kind:     global_buffer
      - .offset:         8
        .size:           8
        .value_kind:     by_value
      - .actual_access:  read_only
        .address_space:  global
        .offset:         16
        .size:           8
        .value_kind:     global_buffer
      - .actual_access:  read_only
        .address_space:  global
        .offset:         24
        .size:           8
        .value_kind:     global_buffer
      - .offset:         32
        .size:           8
        .value_kind:     by_value
      - .actual_access:  read_only
        .address_space:  global
        .offset:         40
        .size:           8
        .value_kind:     global_buffer
      - .actual_access:  read_only
        .address_space:  global
        .offset:         48
        .size:           8
        .value_kind:     global_buffer
      - .offset:         56
        .size:           4
        .value_kind:     by_value
      - .actual_access:  read_only
        .address_space:  global
        .offset:         64
        .size:           8
        .value_kind:     global_buffer
      - .actual_access:  read_only
        .address_space:  global
        .offset:         72
        .size:           8
        .value_kind:     global_buffer
      - .address_space:  global
        .offset:         80
        .size:           8
        .value_kind:     global_buffer
    .group_segment_fixed_size: 0
    .kernarg_segment_align: 8
    .kernarg_segment_size: 88
    .language:       OpenCL C
    .language_version:
      - 2
      - 0
    .max_flat_workgroup_size: 63
    .name:           fft_rtc_back_len1701_factors_3_3_3_3_3_7_wgs_63_tpt_63_halfLds_sp_ip_CI_sbrr_dirReg
    .private_segment_fixed_size: 0
    .sgpr_count:     37
    .sgpr_spill_count: 0
    .symbol:         fft_rtc_back_len1701_factors_3_3_3_3_3_7_wgs_63_tpt_63_halfLds_sp_ip_CI_sbrr_dirReg.kd
    .uniform_work_group_size: 1
    .uses_dynamic_stack: false
    .vgpr_count:     142
    .vgpr_spill_count: 0
    .wavefront_size: 32
    .workgroup_processor_mode: 1
amdhsa.target:   amdgcn-amd-amdhsa--gfx1201
amdhsa.version:
  - 1
  - 2
...

	.end_amdgpu_metadata
